;; amdgpu-corpus repo=ROCm/rocFFT kind=compiled arch=gfx1100 opt=O3
	.text
	.amdgcn_target "amdgcn-amd-amdhsa--gfx1100"
	.amdhsa_code_object_version 6
	.protected	fft_rtc_fwd_len289_factors_17_17_wgs_119_tpt_17_dp_op_CI_CI_sbcc_twdbase6_3step_dirReg ; -- Begin function fft_rtc_fwd_len289_factors_17_17_wgs_119_tpt_17_dp_op_CI_CI_sbcc_twdbase6_3step_dirReg
	.globl	fft_rtc_fwd_len289_factors_17_17_wgs_119_tpt_17_dp_op_CI_CI_sbcc_twdbase6_3step_dirReg
	.p2align	8
	.type	fft_rtc_fwd_len289_factors_17_17_wgs_119_tpt_17_dp_op_CI_CI_sbcc_twdbase6_3step_dirReg,@function
fft_rtc_fwd_len289_factors_17_17_wgs_119_tpt_17_dp_op_CI_CI_sbcc_twdbase6_3step_dirReg: ; @fft_rtc_fwd_len289_factors_17_17_wgs_119_tpt_17_dp_op_CI_CI_sbcc_twdbase6_3step_dirReg
; %bb.0:
	s_mov_b32 s26, s15
	s_clause 0x3
	s_load_b64 s[22:23], s[0:1], 0x0
	s_load_b256 s[4:11], s[0:1], 0x8
	s_load_b128 s[12:15], s[0:1], 0x60
	s_load_b64 s[24:25], s[0:1], 0x28
	v_mov_b32_e32 v9, v0
	s_mov_b32 s1, exec_lo
	s_delay_alu instid0(VALU_DEP_1)
	v_cmpx_gt_u32_e32 0xc0, v9
	s_cbranch_execz .LBB0_3
; %bb.1:
	v_lshlrev_b32_e32 v4, 4, v9
	v_add_co_u32 v0, s0, 0xffffff89, v9
	s_delay_alu instid0(VALU_DEP_1) | instskip(SKIP_1) | instid1(VALU_DEP_3)
	v_add_co_ci_u32_e64 v1, null, 0, -1, s0
	s_waitcnt lgkmcnt(0)
	v_add_co_u32 v2, s0, s4, v4
	s_delay_alu instid0(VALU_DEP_1)
	v_add_co_ci_u32_e64 v3, null, s5, 0, s0
	v_add3_u32 v4, v4, 0, 0x7e70
	s_mov_b32 s2, 0
	.p2align	6
.LBB0_2:                                ; =>This Inner Loop Header: Depth=1
	global_load_b128 v[5:8], v[2:3], off
	v_add_co_u32 v0, vcc_lo, 0x77, v0
	v_add_co_ci_u32_e32 v1, vcc_lo, 0, v1, vcc_lo
	v_add_co_u32 v2, vcc_lo, 0x770, v2
	v_add_co_ci_u32_e32 v3, vcc_lo, 0, v3, vcc_lo
	s_delay_alu instid0(VALU_DEP_3) | instskip(NEXT) | instid1(VALU_DEP_1)
	v_cmp_lt_u64_e64 s0, 0x48, v[0:1]
	s_or_b32 s2, s0, s2
	s_waitcnt vmcnt(0)
	ds_store_2addr_b64 v4, v[5:6], v[7:8] offset1:1
	v_add_nc_u32_e32 v4, 0x770, v4
	s_and_not1_b32 exec_lo, exec_lo, s2
	s_cbranch_execnz .LBB0_2
.LBB0_3:
	s_or_b32 exec_lo, exec_lo, s1
	s_waitcnt lgkmcnt(0)
	s_load_b64 s[28:29], s[8:9], 0x8
	s_mov_b32 s27, 0
	s_waitcnt lgkmcnt(0)
	s_add_u32 s0, s28, -1
	s_addc_u32 s1, s29, -1
	s_add_u32 s2, 0, 0x92481000
	s_addc_u32 s3, 0, 0x64
	s_mul_hi_u32 s5, s2, -7
	s_add_i32 s3, s3, 0x249248c0
	s_sub_i32 s5, s5, s2
	s_mul_i32 s17, s3, -7
	s_mul_i32 s4, s2, -7
	s_add_i32 s5, s5, s17
	s_mul_hi_u32 s16, s2, s4
	s_mul_i32 s19, s2, s5
	s_mul_hi_u32 s17, s2, s5
	s_mul_hi_u32 s18, s3, s4
	s_mul_i32 s4, s3, s4
	s_add_u32 s16, s16, s19
	s_addc_u32 s17, 0, s17
	s_mul_hi_u32 s20, s3, s5
	s_add_u32 s4, s16, s4
	s_mul_i32 s5, s3, s5
	s_addc_u32 s4, s17, s18
	s_addc_u32 s16, s20, 0
	s_add_u32 s4, s4, s5
	s_delay_alu instid0(SALU_CYCLE_1) | instskip(SKIP_3) | instid1(VALU_DEP_1)
	v_add_co_u32 v0, s2, s2, s4
	s_addc_u32 s4, 0, s16
	s_cmp_lg_u32 s2, 0
	s_addc_u32 s2, s3, s4
	v_readfirstlane_b32 s3, v0
	s_mul_i32 s5, s0, s2
	s_mul_hi_u32 s4, s0, s2
	s_mul_hi_u32 s16, s1, s2
	s_mul_i32 s2, s1, s2
	s_mul_hi_u32 s17, s0, s3
	s_mul_hi_u32 s18, s1, s3
	s_mul_i32 s3, s1, s3
	s_add_u32 s5, s17, s5
	s_addc_u32 s4, 0, s4
	s_add_u32 s3, s5, s3
	s_addc_u32 s3, s4, s18
	s_addc_u32 s4, s16, 0
	s_add_u32 s2, s3, s2
	s_addc_u32 s3, 0, s4
	s_mul_i32 s5, s2, 7
	s_add_u32 s4, s2, 1
	v_sub_co_u32 v0, s0, s0, s5
	s_mul_hi_u32 s5, s2, 7
	s_addc_u32 s16, s3, 0
	s_mul_i32 s17, s3, 7
	s_delay_alu instid0(VALU_DEP_1)
	v_sub_co_u32 v1, s18, v0, 7
	s_add_u32 s19, s2, 2
	s_addc_u32 s20, s3, 0
	s_add_i32 s5, s5, s17
	s_cmp_lg_u32 s0, 0
	v_readfirstlane_b32 s0, v1
	s_subb_u32 s1, s1, s5
	s_cmp_lg_u32 s18, 0
	s_subb_u32 s5, s1, 0
	s_delay_alu instid0(VALU_DEP_1) | instskip(SKIP_4) | instid1(SALU_CYCLE_1)
	s_cmp_gt_u32 s0, 6
	s_cselect_b32 s0, -1, 0
	s_cmp_eq_u32 s5, 0
	v_readfirstlane_b32 s5, v0
	s_cselect_b32 s0, s0, -1
	s_cmp_lg_u32 s0, 0
	s_cselect_b32 s0, s19, s4
	s_cselect_b32 s4, s20, s16
	s_cmp_gt_u32 s5, 6
	s_mov_b64 s[20:21], 0
	s_cselect_b32 s5, -1, 0
	s_cmp_eq_u32 s1, 0
	s_cselect_b32 s1, s5, -1
	s_delay_alu instid0(SALU_CYCLE_1) | instskip(SKIP_4) | instid1(SALU_CYCLE_1)
	s_cmp_lg_u32 s1, 0
	s_cselect_b32 s0, s0, s2
	s_cselect_b32 s1, s4, s3
	s_add_u32 s34, s0, 1
	s_addc_u32 s35, s1, 0
	v_cmp_lt_u64_e64 s0, s[26:27], s[34:35]
	s_delay_alu instid0(VALU_DEP_1)
	s_and_b32 vcc_lo, exec_lo, s0
	s_cbranch_vccnz .LBB0_5
; %bb.4:
	v_cvt_f32_u32_e32 v0, s34
	s_sub_i32 s1, 0, s34
	s_mov_b32 s21, s27
	s_delay_alu instid0(VALU_DEP_1) | instskip(SKIP_2) | instid1(VALU_DEP_1)
	v_rcp_iflag_f32_e32 v0, v0
	s_waitcnt_depctr 0xfff
	v_mul_f32_e32 v0, 0x4f7ffffe, v0
	v_cvt_u32_f32_e32 v0, v0
	s_delay_alu instid0(VALU_DEP_1) | instskip(NEXT) | instid1(VALU_DEP_1)
	v_readfirstlane_b32 s0, v0
	s_mul_i32 s1, s1, s0
	s_delay_alu instid0(SALU_CYCLE_1) | instskip(NEXT) | instid1(SALU_CYCLE_1)
	s_mul_hi_u32 s1, s0, s1
	s_add_i32 s0, s0, s1
	s_delay_alu instid0(SALU_CYCLE_1) | instskip(NEXT) | instid1(SALU_CYCLE_1)
	s_mul_hi_u32 s0, s26, s0
	s_mul_i32 s1, s0, s34
	s_add_i32 s2, s0, 1
	s_sub_i32 s1, s26, s1
	s_delay_alu instid0(SALU_CYCLE_1)
	s_sub_i32 s3, s1, s34
	s_cmp_ge_u32 s1, s34
	s_cselect_b32 s0, s2, s0
	s_cselect_b32 s1, s3, s1
	s_add_i32 s2, s0, 1
	s_cmp_ge_u32 s1, s34
	s_cselect_b32 s20, s2, s0
.LBB0_5:
	s_load_b128 s[16:19], s[10:11], 0x0
	s_load_b128 s[0:3], s[24:25], 0x0
	s_mul_i32 s4, s20, s35
	s_mul_hi_u32 s5, s20, s34
	s_mul_i32 s30, s20, s34
	s_add_i32 s5, s5, s4
	s_sub_u32 s48, s26, s30
	s_subb_u32 s4, 0, s5
	v_cmp_lt_u64_e64 s31, s[6:7], 3
	s_mul_hi_u32 s33, s48, 7
	s_mul_i32 s4, s4, 7
	s_mul_i32 s48, s48, 7
	s_add_i32 s33, s33, s4
	s_delay_alu instid0(VALU_DEP_1)
	s_and_b32 vcc_lo, exec_lo, s31
	s_waitcnt lgkmcnt(0)
	s_mul_i32 s4, s18, s33
	s_mul_hi_u32 s5, s18, s48
	s_mul_i32 s36, s2, s33
	s_mul_hi_u32 s37, s2, s48
	s_mul_i32 s31, s19, s48
	s_mul_i32 s38, s3, s48
	s_add_i32 s4, s5, s4
	s_add_i32 s5, s37, s36
	s_mul_i32 s30, s18, s48
	s_add_i32 s31, s4, s31
	s_add_i32 s5, s5, s38
	s_mul_i32 s4, s2, s48
	s_cbranch_vccnz .LBB0_15
; %bb.6:
	s_add_u32 s36, s24, 16
	s_addc_u32 s37, s25, 0
	s_add_u32 s38, s10, 16
	s_addc_u32 s39, s11, 0
	;; [unrolled: 2-line block ×3, first 2 shown]
	s_mov_b64 s[40:41], 2
	s_mov_b32 s42, 0
.LBB0_7:                                ; =>This Inner Loop Header: Depth=1
	s_load_b64 s[44:45], s[8:9], 0x0
	s_waitcnt lgkmcnt(0)
	s_or_b64 s[46:47], s[20:21], s[44:45]
	s_delay_alu instid0(SALU_CYCLE_1) | instskip(NEXT) | instid1(SALU_CYCLE_1)
	s_mov_b32 s43, s47
                                        ; implicit-def: $sgpr46_sgpr47
	s_cmp_lg_u64 s[42:43], 0
	s_mov_b32 s43, -1
	s_cbranch_scc0 .LBB0_9
; %bb.8:                                ;   in Loop: Header=BB0_7 Depth=1
	v_cvt_f32_u32_e32 v0, s44
	v_cvt_f32_u32_e32 v1, s45
	s_sub_u32 s47, 0, s44
	s_subb_u32 s49, 0, s45
	s_delay_alu instid0(VALU_DEP_1) | instskip(NEXT) | instid1(VALU_DEP_1)
	v_fmac_f32_e32 v0, 0x4f800000, v1
	v_rcp_f32_e32 v0, v0
	s_waitcnt_depctr 0xfff
	v_mul_f32_e32 v0, 0x5f7ffffc, v0
	s_delay_alu instid0(VALU_DEP_1) | instskip(NEXT) | instid1(VALU_DEP_1)
	v_mul_f32_e32 v1, 0x2f800000, v0
	v_trunc_f32_e32 v1, v1
	s_delay_alu instid0(VALU_DEP_1) | instskip(SKIP_1) | instid1(VALU_DEP_2)
	v_fmac_f32_e32 v0, 0xcf800000, v1
	v_cvt_u32_f32_e32 v1, v1
	v_cvt_u32_f32_e32 v0, v0
	s_delay_alu instid0(VALU_DEP_2) | instskip(NEXT) | instid1(VALU_DEP_2)
	v_readfirstlane_b32 s43, v1
	v_readfirstlane_b32 s46, v0
	s_delay_alu instid0(VALU_DEP_2) | instskip(NEXT) | instid1(VALU_DEP_1)
	s_mul_i32 s50, s47, s43
	s_mul_hi_u32 s52, s47, s46
	s_mul_i32 s51, s49, s46
	s_add_i32 s50, s52, s50
	s_mul_i32 s53, s47, s46
	s_add_i32 s50, s50, s51
	s_mul_hi_u32 s52, s46, s53
	s_mul_hi_u32 s54, s43, s53
	s_mul_i32 s51, s43, s53
	s_mul_hi_u32 s53, s46, s50
	s_mul_i32 s46, s46, s50
	s_mul_hi_u32 s55, s43, s50
	s_add_u32 s46, s52, s46
	s_addc_u32 s52, 0, s53
	s_add_u32 s46, s46, s51
	s_mul_i32 s50, s43, s50
	s_addc_u32 s46, s52, s54
	s_addc_u32 s51, s55, 0
	s_add_u32 s46, s46, s50
	s_addc_u32 s50, 0, s51
	v_add_co_u32 v0, s46, v0, s46
	s_delay_alu instid0(VALU_DEP_1) | instskip(SKIP_1) | instid1(VALU_DEP_1)
	s_cmp_lg_u32 s46, 0
	s_addc_u32 s43, s43, s50
	v_readfirstlane_b32 s46, v0
	s_mul_i32 s50, s47, s43
	s_delay_alu instid0(VALU_DEP_1)
	s_mul_hi_u32 s51, s47, s46
	s_mul_i32 s49, s49, s46
	s_add_i32 s50, s51, s50
	s_mul_i32 s47, s47, s46
	s_add_i32 s50, s50, s49
	s_mul_hi_u32 s51, s43, s47
	s_mul_i32 s52, s43, s47
	s_mul_hi_u32 s47, s46, s47
	s_mul_hi_u32 s53, s46, s50
	s_mul_i32 s46, s46, s50
	s_mul_hi_u32 s49, s43, s50
	s_add_u32 s46, s47, s46
	s_addc_u32 s47, 0, s53
	s_add_u32 s46, s46, s52
	s_mul_i32 s50, s43, s50
	s_addc_u32 s46, s47, s51
	s_addc_u32 s47, s49, 0
	s_add_u32 s46, s46, s50
	s_addc_u32 s47, 0, s47
	v_add_co_u32 v0, s46, v0, s46
	s_delay_alu instid0(VALU_DEP_1) | instskip(SKIP_1) | instid1(VALU_DEP_1)
	s_cmp_lg_u32 s46, 0
	s_addc_u32 s43, s43, s47
	v_readfirstlane_b32 s46, v0
	s_mul_i32 s49, s20, s43
	s_mul_hi_u32 s47, s20, s43
	s_mul_hi_u32 s50, s21, s43
	s_mul_i32 s43, s21, s43
	s_mul_hi_u32 s51, s20, s46
	s_mul_hi_u32 s52, s21, s46
	s_mul_i32 s46, s21, s46
	s_add_u32 s49, s51, s49
	s_addc_u32 s47, 0, s47
	s_add_u32 s46, s49, s46
	s_addc_u32 s46, s47, s52
	s_addc_u32 s47, s50, 0
	s_add_u32 s46, s46, s43
	s_addc_u32 s47, 0, s47
	s_mul_hi_u32 s43, s44, s46
	s_mul_i32 s50, s44, s47
	s_mul_i32 s51, s44, s46
	s_add_i32 s43, s43, s50
	v_sub_co_u32 v0, s50, s20, s51
	s_mul_i32 s49, s45, s46
	s_delay_alu instid0(SALU_CYCLE_1) | instskip(NEXT) | instid1(VALU_DEP_1)
	s_add_i32 s43, s43, s49
	v_sub_co_u32 v1, s51, v0, s44
	s_sub_i32 s49, s21, s43
	s_cmp_lg_u32 s50, 0
	s_subb_u32 s49, s49, s45
	s_cmp_lg_u32 s51, 0
	v_readfirstlane_b32 s51, v1
	s_subb_u32 s49, s49, 0
	s_delay_alu instid0(SALU_CYCLE_1) | instskip(SKIP_1) | instid1(VALU_DEP_1)
	s_cmp_ge_u32 s49, s45
	s_cselect_b32 s52, -1, 0
	s_cmp_ge_u32 s51, s44
	s_cselect_b32 s51, -1, 0
	s_cmp_eq_u32 s49, s45
	s_cselect_b32 s49, s51, s52
	s_add_u32 s51, s46, 1
	s_addc_u32 s52, s47, 0
	s_add_u32 s53, s46, 2
	s_addc_u32 s54, s47, 0
	s_cmp_lg_u32 s49, 0
	s_cselect_b32 s49, s53, s51
	s_cselect_b32 s51, s54, s52
	s_cmp_lg_u32 s50, 0
	v_readfirstlane_b32 s50, v0
	s_subb_u32 s43, s21, s43
	s_delay_alu instid0(SALU_CYCLE_1) | instskip(SKIP_1) | instid1(VALU_DEP_1)
	s_cmp_ge_u32 s43, s45
	s_cselect_b32 s52, -1, 0
	s_cmp_ge_u32 s50, s44
	s_cselect_b32 s50, -1, 0
	s_cmp_eq_u32 s43, s45
	s_cselect_b32 s43, s50, s52
	s_delay_alu instid0(SALU_CYCLE_1)
	s_cmp_lg_u32 s43, 0
	s_mov_b32 s43, 0
	s_cselect_b32 s47, s51, s47
	s_cselect_b32 s46, s49, s46
.LBB0_9:                                ;   in Loop: Header=BB0_7 Depth=1
	s_and_not1_b32 vcc_lo, exec_lo, s43
	s_cbranch_vccnz .LBB0_11
; %bb.10:                               ;   in Loop: Header=BB0_7 Depth=1
	v_cvt_f32_u32_e32 v0, s44
	s_sub_i32 s46, 0, s44
	s_waitcnt_depctr 0xfff
	v_rcp_iflag_f32_e32 v0, v0
	s_waitcnt_depctr 0xfff
	v_mul_f32_e32 v0, 0x4f7ffffe, v0
	s_delay_alu instid0(VALU_DEP_1) | instskip(NEXT) | instid1(VALU_DEP_1)
	v_cvt_u32_f32_e32 v0, v0
	v_readfirstlane_b32 s43, v0
	s_delay_alu instid0(VALU_DEP_1) | instskip(NEXT) | instid1(SALU_CYCLE_1)
	s_mul_i32 s46, s46, s43
	s_mul_hi_u32 s46, s43, s46
	s_delay_alu instid0(SALU_CYCLE_1) | instskip(NEXT) | instid1(SALU_CYCLE_1)
	s_add_i32 s43, s43, s46
	s_mul_hi_u32 s43, s20, s43
	s_delay_alu instid0(SALU_CYCLE_1) | instskip(SKIP_2) | instid1(SALU_CYCLE_1)
	s_mul_i32 s46, s43, s44
	s_add_i32 s47, s43, 1
	s_sub_i32 s46, s20, s46
	s_sub_i32 s49, s46, s44
	s_cmp_ge_u32 s46, s44
	s_cselect_b32 s43, s47, s43
	s_cselect_b32 s46, s49, s46
	s_add_i32 s47, s43, 1
	s_cmp_ge_u32 s46, s44
	s_cselect_b32 s46, s47, s43
	s_mov_b32 s47, s42
.LBB0_11:                               ;   in Loop: Header=BB0_7 Depth=1
	s_load_b64 s[50:51], s[38:39], 0x0
	s_load_b64 s[52:53], s[36:37], 0x0
	s_mul_i32 s35, s44, s35
	s_mul_hi_u32 s43, s44, s34
	s_mul_i32 s49, s45, s34
	s_mul_i32 s45, s46, s45
	s_mul_hi_u32 s54, s46, s44
	s_mul_i32 s55, s47, s44
	s_add_i32 s35, s43, s35
	s_add_i32 s43, s54, s45
	s_mul_i32 s56, s46, s44
	s_add_i32 s35, s35, s49
	s_add_i32 s43, s43, s55
	s_sub_u32 s20, s20, s56
	s_subb_u32 s21, s21, s43
	s_mul_i32 s34, s44, s34
	s_waitcnt lgkmcnt(0)
	s_mul_i32 s43, s50, s21
	s_mul_hi_u32 s45, s50, s20
	s_mul_i32 s49, s51, s20
	s_add_i32 s43, s45, s43
	s_mul_i32 s50, s50, s20
	s_mul_i32 s21, s52, s21
	s_mul_hi_u32 s45, s52, s20
	s_add_i32 s43, s43, s49
	s_add_u32 s30, s50, s30
	s_addc_u32 s31, s43, s31
	s_add_i32 s21, s45, s21
	s_mul_i32 s43, s53, s20
	s_mul_i32 s20, s52, s20
	s_add_i32 s21, s21, s43
	s_add_u32 s4, s20, s4
	s_addc_u32 s5, s21, s5
	s_add_u32 s40, s40, 1
	s_addc_u32 s41, s41, 0
	s_add_u32 s36, s36, 8
	v_cmp_ge_u64_e64 s20, s[40:41], s[6:7]
	s_addc_u32 s37, s37, 0
	s_add_u32 s38, s38, 8
	s_addc_u32 s39, s39, 0
	s_add_u32 s8, s8, 8
	s_addc_u32 s9, s9, 0
	s_and_b32 vcc_lo, exec_lo, s20
	s_cbranch_vccnz .LBB0_13
; %bb.12:                               ;   in Loop: Header=BB0_7 Depth=1
	s_mov_b64 s[20:21], s[46:47]
	s_branch .LBB0_7
.LBB0_13:
	v_cmp_lt_u64_e64 s8, s[26:27], s[34:35]
	s_mov_b64 s[20:21], 0
	s_delay_alu instid0(VALU_DEP_1)
	s_and_b32 vcc_lo, exec_lo, s8
	s_cbranch_vccnz .LBB0_15
; %bb.14:
	v_cvt_f32_u32_e32 v0, s34
	s_sub_i32 s9, 0, s34
	s_delay_alu instid0(VALU_DEP_1) | instskip(SKIP_2) | instid1(VALU_DEP_1)
	v_rcp_iflag_f32_e32 v0, v0
	s_waitcnt_depctr 0xfff
	v_mul_f32_e32 v0, 0x4f7ffffe, v0
	v_cvt_u32_f32_e32 v0, v0
	s_delay_alu instid0(VALU_DEP_1) | instskip(NEXT) | instid1(VALU_DEP_1)
	v_readfirstlane_b32 s8, v0
	s_mul_i32 s9, s9, s8
	s_delay_alu instid0(SALU_CYCLE_1) | instskip(NEXT) | instid1(SALU_CYCLE_1)
	s_mul_hi_u32 s9, s8, s9
	s_add_i32 s8, s8, s9
	s_delay_alu instid0(SALU_CYCLE_1) | instskip(NEXT) | instid1(SALU_CYCLE_1)
	s_mul_hi_u32 s8, s26, s8
	s_mul_i32 s9, s8, s34
	s_add_i32 s20, s8, 1
	s_sub_i32 s9, s26, s9
	s_delay_alu instid0(SALU_CYCLE_1)
	s_sub_i32 s21, s9, s34
	s_cmp_ge_u32 s9, s34
	s_cselect_b32 s8, s20, s8
	s_cselect_b32 s9, s21, s9
	s_add_i32 s20, s8, 1
	s_cmp_ge_u32 s9, s34
	s_cselect_b32 s20, s20, s8
.LBB0_15:
	v_mul_hi_u32 v69, 0x24924925, v9
	s_lshl_b64 s[6:7], s[6:7], 3
                                        ; implicit-def: $vgpr43_vgpr44
                                        ; implicit-def: $vgpr47_vgpr48
                                        ; implicit-def: $vgpr55_vgpr56
                                        ; implicit-def: $vgpr63_vgpr64
                                        ; implicit-def: $vgpr67_vgpr68
                                        ; implicit-def: $vgpr51_vgpr52
                                        ; implicit-def: $vgpr59_vgpr60
                                        ; implicit-def: $vgpr35_vgpr36
                                        ; implicit-def: $vgpr39_vgpr40
                                        ; implicit-def: $vgpr31_vgpr32
                                        ; implicit-def: $vgpr27_vgpr28
                                        ; implicit-def: $vgpr23_vgpr24
                                        ; implicit-def: $vgpr19_vgpr20
                                        ; implicit-def: $vgpr15_vgpr16
                                        ; implicit-def: $vgpr11_vgpr12
                                        ; implicit-def: $vgpr7_vgpr8
                                        ; implicit-def: $vgpr3_vgpr4
	s_delay_alu instid0(SALU_CYCLE_1) | instskip(SKIP_1) | instid1(VALU_DEP_1)
	s_add_u32 s62, s24, s6
	s_addc_u32 s63, s25, s7
	v_mul_u32_u24_e32 v0, 7, v69
	s_delay_alu instid0(VALU_DEP_1) | instskip(SKIP_4) | instid1(VALU_DEP_1)
	v_sub_nc_u32_e32 v0, v9, v0
	s_clause 0x1
	scratch_store_b32 off, v9, off offset:212
	scratch_store_b32 off, v0, off
	v_add_co_u32 v1, s8, s48, v0
	v_add_co_ci_u32_e64 v2, null, s33, 0, s8
	s_add_u32 s8, s48, 7
	s_addc_u32 s9, s33, 0
	s_delay_alu instid0(VALU_DEP_2) | instskip(SKIP_4) | instid1(SALU_CYCLE_1)
	v_mov_b32_e32 v0, v1
	v_cmp_le_u64_e64 s8, s[8:9], s[28:29]
	v_cmp_gt_u64_e32 vcc_lo, s[28:29], v[1:2]
	scratch_store_b64 off, v[0:1], off offset:216 ; 8-byte Folded Spill
	s_or_b32 s21, s8, vcc_lo
	s_and_saveexec_b32 s8, s21
	s_cbranch_execz .LBB0_17
; %bb.16:
	scratch_load_b32 v9, off, off           ; 4-byte Folded Reload
	v_add_nc_u32_e32 v0, 17, v69
	s_add_u32 s6, s10, s6
	s_addc_u32 s7, s11, s7
	v_mad_u64_u32 v[3:4], null, s16, v69, 0
	s_load_b64 s[6:7], s[6:7], 0x0
	v_mad_u64_u32 v[5:6], null, s16, v0, 0
	v_add_nc_u32_e32 v21, 0x66, v69
	v_add_nc_u32_e32 v23, 0x77, v69
	;; [unrolled: 1-line block ×5, first 2 shown]
	v_mad_u64_u32 v[25:26], null, s16, v21, 0
	v_mad_u64_u32 v[27:28], null, s16, v23, 0
	;; [unrolled: 1-line block ×5, first 2 shown]
	v_add_nc_u32_e32 v49, 0xcc, v69
	v_add_nc_u32_e32 v19, 0x44, v69
	s_waitcnt lgkmcnt(0)
	s_mul_i32 s7, s7, s20
	s_mul_hi_u32 s9, s6, s20
	s_mul_i32 s6, s6, s20
	s_add_i32 s7, s9, s7
	v_add_nc_u32_e32 v32, 0x88, v69
	s_lshl_b64 s[6:7], s[6:7], 4
	v_add_nc_u32_e32 v46, 0xbb, v69
	s_add_u32 s9, s12, s6
	s_addc_u32 s10, s13, s7
	s_lshl_b64 s[6:7], s[30:31], 4
	v_mad_u64_u32 v[33:34], null, s16, v32, 0
	s_add_u32 s6, s9, s6
	s_addc_u32 s7, s10, s7
	v_add_nc_u32_e32 v50, 0xdd, v69
	v_add_nc_u32_e32 v66, 0xff, v69
	s_delay_alu instid0(VALU_DEP_2) | instskip(NEXT) | instid1(VALU_DEP_2)
	v_mad_u64_u32 v[53:54], null, s16, v50, 0
	v_mad_u64_u32 v[61:62], null, s16, v66, 0
	s_waitcnt vmcnt(0)
	v_mad_u64_u32 v[1:2], null, s18, v9, 0
	s_delay_alu instid0(VALU_DEP_1) | instskip(SKIP_2) | instid1(VALU_DEP_2)
	v_mad_u64_u32 v[7:8], null, s19, v9, v[2:3]
	v_mov_b32_e32 v2, v6
	v_mad_u64_u32 v[8:9], null, s17, v69, v[4:5]
	v_mad_u64_u32 v[9:10], null, s17, v0, v[2:3]
	s_delay_alu instid0(VALU_DEP_4) | instskip(NEXT) | instid1(VALU_DEP_3)
	v_mov_b32_e32 v2, v7
	v_mov_b32_e32 v4, v8
	s_delay_alu instid0(VALU_DEP_2) | instskip(NEXT) | instid1(VALU_DEP_4)
	v_lshlrev_b64 v[1:2], 4, v[1:2]
	v_dual_mov_b32 v6, v9 :: v_dual_add_nc_u32 v9, 51, v69
	s_delay_alu instid0(VALU_DEP_3) | instskip(NEXT) | instid1(VALU_DEP_3)
	v_lshlrev_b64 v[3:4], 4, v[3:4]
	v_add_co_u32 v0, vcc_lo, s6, v1
	s_delay_alu instid0(VALU_DEP_3) | instskip(SKIP_2) | instid1(VALU_DEP_4)
	v_mad_u64_u32 v[12:13], null, s16, v9, 0
	v_add_nc_u32_e32 v14, 34, v69
	v_add_co_ci_u32_e32 v65, vcc_lo, s7, v2, vcc_lo
	v_add_co_u32 v1, vcc_lo, v0, v3
	s_delay_alu instid0(VALU_DEP_3) | instskip(NEXT) | instid1(VALU_DEP_3)
	v_mad_u64_u32 v[10:11], null, s16, v14, 0
	v_add_co_ci_u32_e32 v2, vcc_lo, v65, v4, vcc_lo
	v_lshlrev_b64 v[4:5], 4, v[5:6]
	s_delay_alu instid0(VALU_DEP_3) | instskip(NEXT) | instid1(VALU_DEP_1)
	v_mov_b32_e32 v3, v11
	v_mad_u64_u32 v[6:7], null, s17, v14, v[3:4]
	v_mov_b32_e32 v3, v13
	v_mad_u64_u32 v[14:15], null, s16, v19, 0
	v_add_co_u32 v7, vcc_lo, v0, v4
	s_delay_alu instid0(VALU_DEP_3)
	v_mad_u64_u32 v[16:17], null, s17, v9, v[3:4]
	v_dual_mov_b32 v11, v6 :: v_dual_add_nc_u32 v20, 0x55, v69
	v_add_co_ci_u32_e32 v8, vcc_lo, v65, v5, vcc_lo
	s_clause 0x1
	global_load_b128 v[1:4], v[1:2], off
	global_load_b128 v[5:8], v[7:8], off
	v_mov_b32_e32 v13, v16
	v_mad_u64_u32 v[17:18], null, s16, v20, 0
	v_lshlrev_b64 v[9:10], 4, v[10:11]
	v_mov_b32_e32 v11, v15
	s_delay_alu instid0(VALU_DEP_1) | instskip(SKIP_4) | instid1(VALU_DEP_3)
	v_mad_u64_u32 v[15:16], null, s17, v19, v[11:12]
	v_lshlrev_b64 v[12:13], 4, v[12:13]
	v_mov_b32_e32 v11, v18
	v_add_co_u32 v9, vcc_lo, v0, v9
	v_add_co_ci_u32_e32 v10, vcc_lo, v65, v10, vcc_lo
	v_mad_u64_u32 v[18:19], null, s17, v20, v[11:12]
	v_add_co_u32 v19, vcc_lo, v0, v12
	v_lshlrev_b64 v[11:12], 4, v[14:15]
	v_add_co_ci_u32_e32 v20, vcc_lo, v65, v13, vcc_lo
	v_mov_b32_e32 v13, v26
	v_lshlrev_b64 v[14:15], 4, v[17:18]
	s_delay_alu instid0(VALU_DEP_1) | instskip(SKIP_4) | instid1(VALU_DEP_3)
	v_mad_u64_u32 v[16:17], null, s17, v21, v[13:14]
	v_add_co_u32 v17, vcc_lo, v0, v11
	v_mov_b32_e32 v11, v28
	v_add_co_ci_u32_e32 v18, vcc_lo, v65, v12, vcc_lo
	v_add_co_u32 v21, vcc_lo, v0, v14
	v_mad_u64_u32 v[28:29], null, s17, v23, v[11:12]
	v_dual_mov_b32 v29, v34 :: v_dual_mov_b32 v26, v16
	v_add_co_ci_u32_e32 v22, vcc_lo, v65, v15, vcc_lo
	s_clause 0x3
	global_load_b128 v[9:12], v[9:10], off
	global_load_b128 v[13:16], v[19:20], off
	;; [unrolled: 1-line block ×4, first 2 shown]
	v_mad_u64_u32 v[30:31], null, s17, v32, v[29:30]
	v_dual_mov_b32 v29, v36 :: v_dual_mov_b32 v36, v38
	v_lshlrev_b64 v[25:26], 4, v[25:26]
	v_lshlrev_b64 v[27:28], 4, v[27:28]
	s_delay_alu instid0(VALU_DEP_3) | instskip(SKIP_4) | instid1(VALU_DEP_4)
	v_mad_u64_u32 v[39:40], null, s17, v41, v[29:30]
	v_mad_u64_u32 v[41:42], null, s16, v46, 0
	;; [unrolled: 1-line block ×3, first 2 shown]
	v_mov_b32_e32 v34, v30
	v_add_co_u32 v25, vcc_lo, v0, v25
	v_dual_mov_b32 v36, v39 :: v_dual_mov_b32 v39, v42
	s_delay_alu instid0(VALU_DEP_3) | instskip(SKIP_2) | instid1(VALU_DEP_4)
	v_lshlrev_b64 v[33:34], 4, v[33:34]
	v_mov_b32_e32 v38, v43
	v_add_co_ci_u32_e32 v26, vcc_lo, v65, v26, vcc_lo
	v_mad_u64_u32 v[42:43], null, s17, v46, v[39:40]
	v_mad_u64_u32 v[45:46], null, s16, v49, 0
	v_add_co_u32 v31, vcc_lo, v0, v27
	v_lshlrev_b64 v[35:36], 4, v[35:36]
	v_add_co_ci_u32_e32 v32, vcc_lo, v65, v28, vcc_lo
	v_add_co_u32 v33, vcc_lo, v0, v33
	v_mad_u64_u32 v[47:48], null, s17, v49, v[46:47]
	v_lshlrev_b64 v[43:44], 4, v[37:38]
	v_add_co_ci_u32_e32 v34, vcc_lo, v65, v34, vcc_lo
	v_mov_b32_e32 v48, v56
	v_add_co_u32 v35, vcc_lo, v0, v35
	v_dual_mov_b32 v46, v47 :: v_dual_mov_b32 v47, v54
	v_lshlrev_b64 v[41:42], 4, v[41:42]
	v_add_co_ci_u32_e32 v36, vcc_lo, v65, v36, vcc_lo
	v_add_co_u32 v43, vcc_lo, v0, v43
	s_delay_alu instid0(VALU_DEP_4)
	v_mad_u64_u32 v[56:57], null, s17, v50, v[47:48]
	v_add_co_ci_u32_e32 v44, vcc_lo, v65, v44, vcc_lo
	v_add_co_u32 v41, vcc_lo, v0, v41
	v_add_co_ci_u32_e32 v42, vcc_lo, v65, v42, vcc_lo
	s_clause 0x3
	global_load_b128 v[25:28], v[25:26], off
	global_load_b128 v[29:32], v[31:32], off
	;; [unrolled: 1-line block ×4, first 2 shown]
	v_mov_b32_e32 v54, v56
	v_mad_u64_u32 v[63:64], null, s17, v51, v[48:49]
	s_clause 0x1
	global_load_b128 v[57:60], v[43:44], off
	global_load_b128 v[49:52], v[41:42], off
	v_lshlrev_b64 v[42:43], 4, v[45:46]
	v_dual_mov_b32 v41, v62 :: v_dual_mov_b32 v56, v63
	s_delay_alu instid0(VALU_DEP_1)
	v_mad_u64_u32 v[44:45], null, s17, v66, v[41:42]
	v_add_nc_u32_e32 v67, 0x110, v69
	v_add_co_u32 v42, vcc_lo, v0, v42
	v_lshlrev_b64 v[45:46], 4, v[53:54]
	v_add_co_ci_u32_e32 v43, vcc_lo, v65, v43, vcc_lo
	v_mov_b32_e32 v62, v44
	v_mad_u64_u32 v[47:48], null, s16, v67, 0
	s_delay_alu instid0(VALU_DEP_4) | instskip(NEXT) | instid1(VALU_DEP_3)
	v_add_co_u32 v44, vcc_lo, v0, v45
	v_lshlrev_b64 v[61:62], 4, v[61:62]
	v_add_co_ci_u32_e32 v45, vcc_lo, v65, v46, vcc_lo
	s_delay_alu instid0(VALU_DEP_4) | instskip(NEXT) | instid1(VALU_DEP_1)
	v_mov_b32_e32 v41, v48
	v_mad_u64_u32 v[53:54], null, s17, v67, v[41:42]
	v_lshlrev_b64 v[54:55], 4, v[55:56]
	s_delay_alu instid0(VALU_DEP_2) | instskip(NEXT) | instid1(VALU_DEP_2)
	v_mov_b32_e32 v48, v53
	v_add_co_u32 v53, vcc_lo, v0, v54
	s_delay_alu instid0(VALU_DEP_3) | instskip(NEXT) | instid1(VALU_DEP_3)
	v_add_co_ci_u32_e32 v54, vcc_lo, v65, v55, vcc_lo
	v_lshlrev_b64 v[46:47], 4, v[47:48]
	v_add_co_u32 v70, vcc_lo, v0, v61
	v_add_co_ci_u32_e32 v71, vcc_lo, v65, v62, vcc_lo
	s_delay_alu instid0(VALU_DEP_3) | instskip(NEXT) | instid1(VALU_DEP_4)
	v_add_co_u32 v72, vcc_lo, v0, v46
	v_add_co_ci_u32_e32 v73, vcc_lo, v65, v47, vcc_lo
	s_clause 0x4
	global_load_b128 v[65:68], v[42:43], off
	global_load_b128 v[61:64], v[44:45], off
	;; [unrolled: 1-line block ×5, first 2 shown]
.LBB0_17:
	s_or_b32 exec_lo, exec_lo, s8
	s_waitcnt vmcnt(15)
	v_add_f64 v[70:71], v[5:6], v[1:2]
	v_add_f64 v[72:73], v[7:8], v[3:4]
	s_waitcnt vmcnt(7)
	v_add_f64 v[132:133], v[33:34], v[37:38]
	v_add_f64 v[130:131], v[37:38], -v[33:34]
	s_waitcnt vmcnt(6)
	v_add_f64 v[136:137], v[57:58], v[29:30]
	v_add_f64 v[134:135], v[29:30], -v[57:58]
	;; [unrolled: 3-line block ×7, first 2 shown]
	s_mov_b32 s6, 0x370991
	s_mov_b32 s16, 0x75d4884
	;; [unrolled: 1-line block ×22, first 2 shown]
	v_add_f64 v[70:71], v[9:10], v[70:71]
	v_add_f64 v[72:73], v[11:12], v[72:73]
	s_mov_b32 s56, 0x4363dd80
	s_mov_b32 s44, 0xacd6c6b4
	;; [unrolled: 1-line block ×26, first 2 shown]
	v_mul_f64 v[110:111], v[154:155], s[28:29]
	v_mul_f64 v[112:113], v[150:151], s[46:47]
	;; [unrolled: 1-line block ×10, first 2 shown]
	v_add_f64 v[70:71], v[13:14], v[70:71]
	v_add_f64 v[72:73], v[15:16], v[72:73]
	v_mul_f64 v[146:147], v[182:183], s[36:37]
	v_mul_f64 v[156:157], v[174:175], s[44:45]
	;; [unrolled: 1-line block ×32, first 2 shown]
	s_load_b64 s[62:63], s[62:63], 0x0
	v_add_f64 v[70:71], v[17:18], v[70:71]
	v_add_f64 v[72:73], v[19:20], v[72:73]
	s_delay_alu instid0(VALU_DEP_2) | instskip(NEXT) | instid1(VALU_DEP_2)
	v_add_f64 v[70:71], v[21:22], v[70:71]
	v_add_f64 v[72:73], v[23:24], v[72:73]
	s_delay_alu instid0(VALU_DEP_2) | instskip(NEXT) | instid1(VALU_DEP_2)
	;; [unrolled: 3-line block ×3, first 2 shown]
	v_add_f64 v[70:71], v[29:30], v[70:71]
	v_add_f64 v[74:75], v[31:32], v[72:73]
	v_add_f64 v[29:30], v[31:32], -v[59:60]
	s_delay_alu instid0(VALU_DEP_3) | instskip(NEXT) | instid1(VALU_DEP_3)
	v_add_f64 v[72:73], v[37:38], v[70:71]
	v_add_f64 v[74:75], v[39:40], v[74:75]
	;; [unrolled: 1-line block ×3, first 2 shown]
	v_add_f64 v[37:38], v[39:40], -v[35:36]
	s_delay_alu instid0(VALU_DEP_4) | instskip(NEXT) | instid1(VALU_DEP_4)
	v_add_f64 v[39:40], v[33:34], v[72:73]
	v_add_f64 v[35:36], v[35:36], v[74:75]
	;; [unrolled: 1-line block ×4, first 2 shown]
	s_delay_alu instid0(VALU_DEP_4) | instskip(NEXT) | instid1(VALU_DEP_4)
	v_add_f64 v[39:40], v[57:58], v[39:40]
	v_add_f64 v[57:58], v[59:60], v[35:36]
	v_add_f64 v[35:36], v[27:28], -v[51:52]
	v_add_f64 v[59:60], v[55:56], v[15:16]
	s_delay_alu instid0(VALU_DEP_4) | instskip(NEXT) | instid1(VALU_DEP_4)
	v_add_f64 v[25:26], v[49:50], v[39:40]
	v_add_f64 v[27:28], v[51:52], v[57:58]
	;; [unrolled: 1-line block ×3, first 2 shown]
	v_add_f64 v[49:50], v[23:24], -v[67:68]
	v_add_f64 v[51:52], v[63:64], v[19:20]
	v_add_f64 v[57:58], v[19:20], -v[63:64]
	v_add_f64 v[21:22], v[65:66], v[25:26]
	v_add_f64 v[23:24], v[67:68], v[27:28]
	s_delay_alu instid0(VALU_DEP_2) | instskip(NEXT) | instid1(VALU_DEP_2)
	v_add_f64 v[17:18], v[61:62], v[21:22]
	v_add_f64 v[19:20], v[63:64], v[23:24]
	v_add_f64 v[61:62], v[15:16], -v[55:56]
	s_delay_alu instid0(VALU_DEP_3) | instskip(NEXT) | instid1(VALU_DEP_3)
	v_add_f64 v[13:14], v[53:54], v[17:18]
	v_add_f64 v[15:16], v[55:56], v[19:20]
	;; [unrolled: 1-line block ×3, first 2 shown]
	v_add_f64 v[55:56], v[11:12], -v[47:48]
	s_waitcnt vmcnt(0)
	v_add_f64 v[17:18], v[5:6], -v[41:42]
	v_add_f64 v[19:20], v[7:8], -v[43:44]
	v_add_f64 v[9:10], v[45:46], v[13:14]
	v_add_f64 v[11:12], v[47:48], v[15:16]
	;; [unrolled: 1-line block ×4, first 2 shown]
	v_mul_f64 v[63:64], v[17:18], s[38:39]
	v_mul_f64 v[80:81], v[17:18], s[26:27]
	;; [unrolled: 1-line block ×5, first 2 shown]
	v_add_f64 v[186:187], v[41:42], v[9:10]
	v_add_f64 v[188:189], v[43:44], v[11:12]
	v_mul_f64 v[9:10], v[13:14], s[6:7]
	v_mul_f64 v[11:12], v[13:14], s[16:17]
	;; [unrolled: 1-line block ×8, first 2 shown]
	v_fma_f64 v[98:99], v[15:16], s[34:35], -v[63:64]
	v_fma_f64 v[100:101], v[15:16], s[12:13], v[80:81]
	v_fma_f64 v[80:81], v[15:16], s[12:13], -v[80:81]
	v_fma_f64 v[94:95], v[15:16], s[34:35], v[63:64]
	v_fma_f64 v[102:103], v[15:16], s[24:25], v[82:83]
	v_fma_f64 v[82:83], v[15:16], s[24:25], -v[82:83]
	v_fma_f64 v[104:105], v[15:16], s[36:37], v[84:85]
	v_fma_f64 v[84:85], v[15:16], s[36:37], -v[84:85]
	;; [unrolled: 2-line block ×3, first 2 shown]
	v_mul_f64 v[63:64], v[130:131], s[42:43]
	v_fma_f64 v[43:44], v[19:20], s[52:53], v[9:10]
	v_fma_f64 v[9:10], v[19:20], s[8:9], v[9:10]
	;; [unrolled: 1-line block ×16, first 2 shown]
	v_mul_f64 v[19:20], v[17:18], s[8:9]
	v_mul_f64 v[41:42], v[17:18], s[48:49]
	v_mul_f64 v[17:18], v[17:18], s[46:47]
	v_add_f64 v[152:153], v[3:4], v[94:95]
	v_add_f64 v[190:191], v[3:4], v[100:101]
	;; [unrolled: 1-line block ×7, first 2 shown]
	v_mul_f64 v[102:103], v[182:183], s[12:13]
	v_mul_f64 v[104:105], v[180:181], s[26:27]
	;; [unrolled: 1-line block ×3, first 2 shown]
	v_add_f64 v[5:6], v[1:2], v[9:10]
	v_add_f64 v[9:10], v[1:2], v[45:46]
	v_mul_f64 v[45:46], v[140:141], s[12:13]
	v_add_f64 v[148:149], v[1:2], v[47:48]
	v_mul_f64 v[47:48], v[136:137], s[6:7]
	v_add_f64 v[196:197], v[1:2], v[27:28]
	v_add_f64 v[200:201], v[1:2], v[74:75]
	;; [unrolled: 1-line block ×5, first 2 shown]
	v_fma_f64 v[88:89], v[15:16], s[6:7], v[19:20]
	v_fma_f64 v[19:20], v[15:16], s[6:7], -v[19:20]
	v_fma_f64 v[92:93], v[15:16], s[16:17], -v[41:42]
	v_fma_f64 v[90:91], v[15:16], s[16:17], v[41:42]
	v_fma_f64 v[108:109], v[15:16], s[28:29], v[17:18]
	v_fma_f64 v[15:16], v[15:16], s[28:29], -v[17:18]
	v_add_f64 v[17:18], v[1:2], v[43:44]
	v_fma_f64 v[27:28], v[61:62], s[48:49], v[248:249]
	v_mul_f64 v[41:42], v[144:145], s[28:29]
	v_mul_f64 v[43:44], v[142:143], s[46:47]
	v_fma_f64 v[13:14], v[61:62], s[58:59], v[106:107]
	scratch_store_b64 off, v[5:6], off offset:4 ; 8-byte Folded Spill
	v_add_f64 v[88:89], v[3:4], v[88:89]
	v_add_f64 v[5:6], v[3:4], v[19:20]
	;; [unrolled: 1-line block ×5, first 2 shown]
	v_mul_f64 v[90:91], v[132:133], s[28:29]
	v_mul_f64 v[108:109], v[174:175], s[42:43]
	scratch_store_b64 off, v[5:6], off offset:20 ; 8-byte Folded Spill
	v_add_f64 v[5:6], v[1:2], v[11:12]
	scratch_store_b64 off, v[5:6], off offset:52 ; 8-byte Folded Spill
	v_add_f64 v[5:6], v[3:4], v[92:93]
	v_mul_f64 v[92:93], v[130:131], s[46:47]
	scratch_store_b64 off, v[5:6], off offset:36 ; 8-byte Folded Spill
	v_add_f64 v[5:6], v[1:2], v[21:22]
	v_add_f64 v[21:22], v[1:2], v[65:66]
	v_mul_f64 v[65:66], v[132:133], s[36:37]
	scratch_store_b64 off, v[5:6], off offset:180 ; 8-byte Folded Spill
	v_add_f64 v[5:6], v[3:4], v[98:99]
	v_add_f64 v[98:99], v[1:2], v[25:26]
	;; [unrolled: 1-line block ×3, first 2 shown]
	scratch_store_b64 off, v[5:6], off offset:172 ; 8-byte Folded Spill
	v_add_f64 v[5:6], v[1:2], v[23:24]
	v_add_f64 v[23:24], v[1:2], v[67:68]
	v_mul_f64 v[0:1], v[182:183], s[16:17]
	v_mul_f64 v[67:68], v[134:135], s[8:9]
	scratch_store_b64 off, v[5:6], off offset:196 ; 8-byte Folded Spill
	v_add_f64 v[5:6], v[3:4], v[80:81]
	scratch_store_b64 off, v[5:6], off offset:188 ; 8-byte Folded Spill
	v_add_f64 v[5:6], v[3:4], v[82:83]
	v_mul_f64 v[3:4], v[180:181], s[48:49]
	scratch_store_b64 off, v[0:1], off offset:68 ; 8-byte Folded Spill
	v_fma_f64 v[1:2], v[55:56], s[18:19], v[0:1]
	scratch_store_b64 off, v[5:6], off offset:204 ; 8-byte Folded Spill
	v_mul_f64 v[5:6], v[176:177], s[34:35]
	scratch_store_b64 off, v[3:4], off offset:84 ; 8-byte Folded Spill
	v_add_f64 v[1:2], v[1:2], v[17:18]
	v_fma_f64 v[3:4], v[53:54], s[16:17], v[3:4]
	scratch_store_b64 off, v[5:6], off offset:92 ; 8-byte Folded Spill
	v_fma_f64 v[11:12], v[61:62], s[54:55], v[5:6]
	v_mul_f64 v[5:6], v[174:175], s[38:39]
	v_add_f64 v[3:4], v[3:4], v[88:89]
	v_mul_f64 v[88:89], v[134:135], s[30:31]
	s_delay_alu instid0(VALU_DEP_4) | instskip(SKIP_3) | instid1(VALU_DEP_2)
	v_add_f64 v[1:2], v[11:12], v[1:2]
	scratch_store_b64 off, v[5:6], off offset:108 ; 8-byte Folded Spill
	v_fma_f64 v[11:12], v[59:60], s[34:35], v[5:6]
	v_mul_f64 v[5:6], v[154:155], s[12:13]
	v_add_f64 v[3:4], v[11:12], v[3:4]
	scratch_store_b64 off, v[5:6], off offset:116 ; 8-byte Folded Spill
	v_fma_f64 v[11:12], v[57:58], s[60:61], v[5:6]
	v_mul_f64 v[5:6], v[150:151], s[26:27]
	s_delay_alu instid0(VALU_DEP_2) | instskip(SKIP_3) | instid1(VALU_DEP_2)
	v_add_f64 v[1:2], v[11:12], v[1:2]
	scratch_store_b64 off, v[5:6], off offset:124 ; 8-byte Folded Spill
	v_fma_f64 v[11:12], v[51:52], s[12:13], v[5:6]
	v_mul_f64 v[5:6], v[144:145], s[24:25]
	v_add_f64 v[3:4], v[11:12], v[3:4]
	scratch_store_b64 off, v[5:6], off offset:132 ; 8-byte Folded Spill
	v_fma_f64 v[11:12], v[49:50], s[40:41], v[5:6]
	v_mul_f64 v[5:6], v[142:143], s[50:51]
	s_delay_alu instid0(VALU_DEP_2) | instskip(SKIP_3) | instid1(VALU_DEP_2)
	;; [unrolled: 9-line block ×3, first 2 shown]
	v_add_f64 v[1:2], v[11:12], v[1:2]
	scratch_store_b64 off, v[5:6], off offset:156 ; 8-byte Folded Spill
	v_fma_f64 v[11:12], v[31:32], s[36:37], v[5:6]
	v_mul_f64 v[5:6], v[136:137], s[10:11]
	v_add_f64 v[3:4], v[11:12], v[3:4]
	s_delay_alu instid0(VALU_DEP_2) | instskip(SKIP_4) | instid1(VALU_DEP_1)
	v_fma_f64 v[11:12], v[29:30], s[56:57], v[5:6]
	scratch_store_b64 off, v[5:6], off offset:164 ; 8-byte Folded Spill
	v_mul_f64 v[6:7], v[138:139], s[48:49]
	v_add_f64 v[1:2], v[11:12], v[1:2]
	v_fma_f64 v[11:12], v[33:34], s[10:11], v[88:89]
	v_add_f64 v[3:4], v[11:12], v[3:4]
	v_fma_f64 v[11:12], v[37:38], s[44:45], v[90:91]
	s_delay_alu instid0(VALU_DEP_1) | instskip(SKIP_2) | instid1(VALU_DEP_2)
	v_add_f64 v[76:77], v[11:12], v[1:2]
	v_fma_f64 v[11:12], v[70:71], s[28:29], v[92:93]
	v_mul_f64 v[0:1], v[132:133], s[34:35]
	v_add_f64 v[78:79], v[11:12], v[3:4]
	v_fma_f64 v[11:12], v[55:56], s[60:61], v[102:103]
	v_fma_f64 v[2:3], v[49:50], s[44:45], v[41:42]
	v_mul_f64 v[4:5], v[136:137], s[28:29]
	s_delay_alu instid0(VALU_DEP_3) | instskip(SKIP_1) | instid1(VALU_DEP_2)
	v_add_f64 v[9:10], v[11:12], v[9:10]
	v_fma_f64 v[11:12], v[53:54], s[12:13], v[104:105]
	v_add_f64 v[9:10], v[13:14], v[9:10]
	s_delay_alu instid0(VALU_DEP_2) | instskip(SKIP_2) | instid1(VALU_DEP_2)
	v_add_f64 v[11:12], v[11:12], v[19:20]
	v_fma_f64 v[13:14], v[59:60], s[36:37], v[108:109]
	v_fma_f64 v[19:20], v[53:54], s[28:29], v[218:219]
	v_add_f64 v[11:12], v[13:14], v[11:12]
	v_fma_f64 v[13:14], v[57:58], s[44:45], v[110:111]
	s_delay_alu instid0(VALU_DEP_3) | instskip(SKIP_1) | instid1(VALU_DEP_3)
	v_add_f64 v[19:20], v[19:20], v[190:191]
	v_mul_f64 v[190:191], v[180:181], s[40:41]
	v_add_f64 v[9:10], v[13:14], v[9:10]
	v_fma_f64 v[13:14], v[51:52], s[28:29], v[112:113]
	s_delay_alu instid0(VALU_DEP_1) | instskip(SKIP_1) | instid1(VALU_DEP_1)
	v_add_f64 v[11:12], v[13:14], v[11:12]
	v_fma_f64 v[13:14], v[49:50], s[30:31], v[114:115]
	v_add_f64 v[9:10], v[13:14], v[9:10]
	v_fma_f64 v[13:14], v[39:40], s[10:11], v[116:117]
	s_delay_alu instid0(VALU_DEP_1) | instskip(SKIP_1) | instid1(VALU_DEP_1)
	v_add_f64 v[11:12], v[13:14], v[11:12]
	v_fma_f64 v[13:14], v[35:36], s[50:51], v[118:119]
	;; [unrolled: 5-line block ×4, first 2 shown]
	v_add_f64 v[72:73], v[13:14], v[9:10]
	v_fma_f64 v[13:14], v[70:71], s[6:7], v[128:129]
	v_mul_f64 v[8:9], v[140:141], s[16:17]
	s_delay_alu instid0(VALU_DEP_2) | instskip(SKIP_1) | instid1(VALU_DEP_1)
	v_add_f64 v[74:75], v[13:14], v[11:12]
	v_fma_f64 v[13:14], v[55:56], s[58:59], v[146:147]
	v_add_f64 v[13:14], v[13:14], v[148:149]
	v_mul_f64 v[148:149], v[180:181], s[42:43]
	s_delay_alu instid0(VALU_DEP_1) | instskip(NEXT) | instid1(VALU_DEP_1)
	v_fma_f64 v[15:16], v[53:54], s[36:37], v[148:149]
	v_add_f64 v[15:16], v[15:16], v[152:153]
	v_mul_f64 v[152:153], v[176:177], s[28:29]
	s_delay_alu instid0(VALU_DEP_1) | instskip(NEXT) | instid1(VALU_DEP_1)
	v_fma_f64 v[17:18], v[61:62], s[46:47], v[152:153]
	v_add_f64 v[13:14], v[17:18], v[13:14]
	v_fma_f64 v[17:18], v[59:60], s[28:29], v[156:157]
	s_delay_alu instid0(VALU_DEP_1) | instskip(SKIP_1) | instid1(VALU_DEP_1)
	v_add_f64 v[15:16], v[17:18], v[15:16]
	v_fma_f64 v[17:18], v[57:58], s[50:51], v[158:159]
	v_add_f64 v[13:14], v[17:18], v[13:14]
	v_fma_f64 v[17:18], v[51:52], s[24:25], v[160:161]
	s_delay_alu instid0(VALU_DEP_1) | instskip(SKIP_1) | instid1(VALU_DEP_1)
	v_add_f64 v[15:16], v[17:18], v[15:16]
	;; [unrolled: 5-line block ×5, first 2 shown]
	v_fma_f64 v[17:18], v[37:38], s[56:57], v[178:179]
	v_add_f64 v[84:85], v[17:18], v[13:14]
	v_fma_f64 v[17:18], v[70:71], s[10:11], v[184:185]
	v_mul_f64 v[12:13], v[144:145], s[12:13]
	s_delay_alu instid0(VALU_DEP_2) | instskip(SKIP_2) | instid1(VALU_DEP_2)
	v_add_f64 v[86:87], v[17:18], v[15:16]
	v_fma_f64 v[17:18], v[55:56], s[44:45], v[216:217]
	v_fma_f64 v[14:15], v[29:30], s[52:53], v[47:48]
	v_add_f64 v[17:18], v[17:18], v[21:22]
	v_fma_f64 v[21:22], v[61:62], s[50:51], v[220:221]
	s_delay_alu instid0(VALU_DEP_1) | instskip(SKIP_1) | instid1(VALU_DEP_1)
	v_add_f64 v[17:18], v[21:22], v[17:18]
	v_fma_f64 v[21:22], v[59:60], s[24:25], v[222:223]
	v_add_f64 v[19:20], v[21:22], v[19:20]
	v_fma_f64 v[21:22], v[57:58], s[8:9], v[224:225]
	s_delay_alu instid0(VALU_DEP_1) | instskip(SKIP_1) | instid1(VALU_DEP_1)
	v_add_f64 v[17:18], v[21:22], v[17:18]
	;; [unrolled: 5-line block ×5, first 2 shown]
	v_fma_f64 v[21:22], v[33:34], s[36:37], v[238:239]
	v_add_f64 v[19:20], v[21:22], v[19:20]
	v_fma_f64 v[21:22], v[37:38], s[48:49], v[240:241]
	s_delay_alu instid0(VALU_DEP_1) | instskip(SKIP_2) | instid1(VALU_DEP_2)
	v_add_f64 v[80:81], v[21:22], v[17:18]
	v_fma_f64 v[21:22], v[70:71], s[16:17], v[242:243]
	v_mul_f64 v[16:17], v[182:183], s[24:25]
	v_add_f64 v[82:83], v[21:22], v[19:20]
	v_fma_f64 v[21:22], v[55:56], s[30:31], v[244:245]
	v_fma_f64 v[18:19], v[37:38], s[58:59], v[65:66]
	s_delay_alu instid0(VALU_DEP_2) | instskip(SKIP_1) | instid1(VALU_DEP_2)
	v_add_f64 v[21:22], v[21:22], v[23:24]
	v_fma_f64 v[23:24], v[53:54], s[10:11], v[246:247]
	v_add_f64 v[21:22], v[27:28], v[21:22]
	s_delay_alu instid0(VALU_DEP_2) | instskip(SKIP_2) | instid1(VALU_DEP_2)
	v_add_f64 v[23:24], v[23:24], v[192:193]
	v_fma_f64 v[27:28], v[59:60], s[16:17], v[250:251]
	v_mul_f64 v[192:193], v[176:177], s[6:7]
	v_add_f64 v[23:24], v[27:28], v[23:24]
	v_fma_f64 v[27:28], v[57:58], s[54:55], v[252:253]
	s_delay_alu instid0(VALU_DEP_1) | instskip(SKIP_1) | instid1(VALU_DEP_2)
	v_add_f64 v[21:22], v[27:28], v[21:22]
	v_fma_f64 v[27:28], v[51:52], s[34:35], v[254:255]
	v_add_f64 v[2:3], v[2:3], v[21:22]
	s_delay_alu instid0(VALU_DEP_2) | instskip(SKIP_2) | instid1(VALU_DEP_2)
	v_add_f64 v[23:24], v[27:28], v[23:24]
	v_fma_f64 v[21:22], v[39:40], s[28:29], v[43:44]
	v_fma_f64 v[27:28], v[61:62], s[52:53], v[192:193]
	v_add_f64 v[21:22], v[21:22], v[23:24]
	v_fma_f64 v[23:24], v[35:36], s[26:27], v[45:46]
	s_delay_alu instid0(VALU_DEP_1) | instskip(SKIP_1) | instid1(VALU_DEP_2)
	v_add_f64 v[2:3], v[23:24], v[2:3]
	v_mul_f64 v[23:24], v[138:139], s[60:61]
	v_add_f64 v[2:3], v[14:15], v[2:3]
	s_delay_alu instid0(VALU_DEP_2) | instskip(SKIP_1) | instid1(VALU_DEP_3)
	v_fma_f64 v[10:11], v[31:32], s[12:13], v[23:24]
	v_mul_f64 v[14:15], v[154:155], s[10:11]
	v_add_f64 v[212:213], v[18:19], v[2:3]
	s_delay_alu instid0(VALU_DEP_3) | instskip(SKIP_3) | instid1(VALU_DEP_3)
	v_add_f64 v[10:11], v[10:11], v[21:22]
	v_fma_f64 v[21:22], v[33:34], s[6:7], v[67:68]
	v_fma_f64 v[18:19], v[70:71], s[36:37], v[63:64]
	v_mul_f64 v[2:3], v[134:135], s[46:47]
	v_add_f64 v[10:11], v[21:22], v[10:11]
	v_fma_f64 v[20:21], v[57:58], s[56:57], v[14:15]
	v_fma_f64 v[14:15], v[57:58], s[30:31], v[14:15]
	s_delay_alu instid0(VALU_DEP_3) | instskip(SKIP_3) | instid1(VALU_DEP_3)
	v_add_f64 v[214:215], v[18:19], v[10:11]
	v_fma_f64 v[18:19], v[55:56], s[50:51], v[16:17]
	v_mul_f64 v[10:11], v[142:143], s[60:61]
	v_fma_f64 v[16:17], v[55:56], s[40:41], v[16:17]
	v_add_f64 v[18:19], v[18:19], v[25:26]
	v_fma_f64 v[25:26], v[53:54], s[24:25], v[190:191]
	s_delay_alu instid0(VALU_DEP_3) | instskip(NEXT) | instid1(VALU_DEP_3)
	v_add_f64 v[16:17], v[16:17], v[196:197]
	v_add_f64 v[18:19], v[27:28], v[18:19]
	s_delay_alu instid0(VALU_DEP_3) | instskip(SKIP_1) | instid1(VALU_DEP_3)
	v_add_f64 v[25:26], v[25:26], v[194:195]
	v_mul_f64 v[194:195], v[174:175], s[8:9]
	v_add_f64 v[18:19], v[20:21], v[18:19]
	v_mul_f64 v[20:21], v[150:151], s[30:31]
	s_delay_alu instid0(VALU_DEP_3) | instskip(NEXT) | instid1(VALU_DEP_1)
	v_fma_f64 v[27:28], v[59:60], s[6:7], v[194:195]
	v_add_f64 v[25:26], v[27:28], v[25:26]
	s_delay_alu instid0(VALU_DEP_3) | instskip(NEXT) | instid1(VALU_DEP_1)
	v_fma_f64 v[27:28], v[51:52], s[10:11], v[20:21]
	v_add_f64 v[25:26], v[27:28], v[25:26]
	v_fma_f64 v[27:28], v[49:50], s[26:27], v[12:13]
	v_fma_f64 v[12:13], v[49:50], s[60:61], v[12:13]
	s_delay_alu instid0(VALU_DEP_2) | instskip(SKIP_2) | instid1(VALU_DEP_2)
	v_add_f64 v[18:19], v[27:28], v[18:19]
	v_fma_f64 v[27:28], v[39:40], s[12:13], v[10:11]
	v_fma_f64 v[10:11], v[39:40], s[12:13], -v[10:11]
	v_add_f64 v[25:26], v[27:28], v[25:26]
	v_fma_f64 v[27:28], v[35:36], s[18:19], v[8:9]
	v_fma_f64 v[8:9], v[35:36], s[48:49], v[8:9]
	s_delay_alu instid0(VALU_DEP_2) | instskip(SKIP_2) | instid1(VALU_DEP_2)
	v_add_f64 v[18:19], v[27:28], v[18:19]
	v_fma_f64 v[27:28], v[31:32], s[16:17], v[6:7]
	v_fma_f64 v[6:7], v[31:32], s[16:17], -v[6:7]
	;; [unrolled: 7-line block ×3, first 2 shown]
	v_add_f64 v[27:28], v[27:28], v[25:26]
	v_fma_f64 v[25:26], v[37:38], s[38:39], v[0:1]
	v_fma_f64 v[0:1], v[37:38], s[54:55], v[0:1]
	s_delay_alu instid0(VALU_DEP_2) | instskip(SKIP_1) | instid1(VALU_DEP_1)
	v_add_f64 v[25:26], v[25:26], v[18:19]
	v_mul_f64 v[18:19], v[130:131], s[54:55]
	v_fma_f64 v[100:101], v[70:71], s[34:35], v[18:19]
	s_delay_alu instid0(VALU_DEP_1) | instskip(SKIP_2) | instid1(VALU_DEP_2)
	v_add_f64 v[27:28], v[100:101], v[27:28]
	v_fma_f64 v[100:101], v[53:54], s[24:25], -v[190:191]
	v_fma_f64 v[190:191], v[61:62], s[8:9], v[192:193]
	v_add_f64 v[100:101], v[100:101], v[198:199]
	s_delay_alu instid0(VALU_DEP_2) | instskip(SKIP_3) | instid1(VALU_DEP_4)
	v_add_f64 v[16:17], v[190:191], v[16:17]
	v_fma_f64 v[190:191], v[59:60], s[6:7], -v[194:195]
	v_mul_f64 v[198:199], v[136:137], s[16:17]
	v_mul_f64 v[136:137], v[136:137], s[24:25]
	v_add_f64 v[14:15], v[14:15], v[16:17]
	s_delay_alu instid0(VALU_DEP_4) | instskip(SKIP_1) | instid1(VALU_DEP_3)
	v_add_f64 v[100:101], v[190:191], v[100:101]
	v_fma_f64 v[16:17], v[51:52], s[10:11], -v[20:21]
	v_add_f64 v[12:13], v[12:13], v[14:15]
	s_delay_alu instid0(VALU_DEP_2) | instskip(NEXT) | instid1(VALU_DEP_2)
	v_add_f64 v[16:17], v[16:17], v[100:101]
	v_add_f64 v[8:9], v[8:9], v[12:13]
	s_delay_alu instid0(VALU_DEP_2) | instskip(NEXT) | instid1(VALU_DEP_2)
	v_add_f64 v[10:11], v[10:11], v[16:17]
	v_add_f64 v[4:5], v[4:5], v[8:9]
	v_mul_f64 v[8:9], v[176:177], s[12:13]
	s_delay_alu instid0(VALU_DEP_3) | instskip(NEXT) | instid1(VALU_DEP_3)
	v_add_f64 v[6:7], v[6:7], v[10:11]
	v_add_f64 v[190:191], v[0:1], v[4:5]
	v_mul_f64 v[0:1], v[182:183], s[34:35]
	s_delay_alu instid0(VALU_DEP_3) | instskip(SKIP_3) | instid1(VALU_DEP_3)
	v_add_f64 v[2:3], v[2:3], v[6:7]
	v_fma_f64 v[6:7], v[70:71], s[34:35], -v[18:19]
	v_mul_f64 v[4:5], v[180:181], s[54:55]
	v_fma_f64 v[10:11], v[61:62], s[60:61], v[8:9]
	v_add_f64 v[192:193], v[6:7], v[2:3]
	v_fma_f64 v[2:3], v[55:56], s[38:39], v[0:1]
	s_delay_alu instid0(VALU_DEP_4) | instskip(SKIP_2) | instid1(VALU_DEP_4)
	v_fma_f64 v[6:7], v[53:54], s[34:35], v[4:5]
	v_fma_f64 v[0:1], v[55:56], s[54:55], v[0:1]
	v_fma_f64 v[4:5], v[53:54], s[34:35], -v[4:5]
	v_add_f64 v[2:3], v[2:3], v[200:201]
	s_delay_alu instid0(VALU_DEP_4)
	v_add_f64 v[6:7], v[6:7], v[202:203]
	v_mul_f64 v[200:201], v[134:135], s[18:19]
	v_mul_f64 v[202:203], v[132:133], s[24:25]
	v_add_f64 v[0:1], v[0:1], v[204:205]
	v_add_f64 v[4:5], v[4:5], v[206:207]
	v_mul_f64 v[134:135], v[134:135], s[50:51]
	v_add_f64 v[2:3], v[10:11], v[2:3]
	v_mul_f64 v[10:11], v[174:175], s[26:27]
	s_delay_alu instid0(VALU_DEP_1) | instskip(NEXT) | instid1(VALU_DEP_1)
	v_fma_f64 v[12:13], v[59:60], s[12:13], v[10:11]
	v_add_f64 v[6:7], v[12:13], v[6:7]
	v_mul_f64 v[12:13], v[154:155], s[36:37]
	s_delay_alu instid0(VALU_DEP_1) | instskip(NEXT) | instid1(VALU_DEP_1)
	v_fma_f64 v[14:15], v[57:58], s[42:43], v[12:13]
	;; [unrolled: 4-line block ×7, first 2 shown]
	v_add_f64 v[6:7], v[194:195], v[6:7]
	v_fma_f64 v[194:195], v[29:30], s[48:49], v[198:199]
	s_delay_alu instid0(VALU_DEP_1) | instskip(SKIP_1) | instid1(VALU_DEP_1)
	v_add_f64 v[2:3], v[194:195], v[2:3]
	v_fma_f64 v[194:195], v[33:34], s[16:17], v[200:201]
	v_add_f64 v[6:7], v[194:195], v[6:7]
	v_fma_f64 v[194:195], v[37:38], s[40:41], v[202:203]
	s_delay_alu instid0(VALU_DEP_1) | instskip(SKIP_1) | instid1(VALU_DEP_1)
	v_add_f64 v[194:195], v[194:195], v[2:3]
	v_mul_f64 v[2:3], v[130:131], s[50:51]
	v_fma_f64 v[196:197], v[70:71], s[24:25], v[2:3]
	v_fma_f64 v[2:3], v[70:71], s[24:25], -v[2:3]
	s_delay_alu instid0(VALU_DEP_2) | instskip(SKIP_2) | instid1(VALU_DEP_2)
	v_add_f64 v[196:197], v[196:197], v[6:7]
	v_fma_f64 v[6:7], v[61:62], s[26:27], v[8:9]
	v_mul_f64 v[8:9], v[176:177], s[10:11]
	v_add_f64 v[0:1], v[6:7], v[0:1]
	v_fma_f64 v[6:7], v[59:60], s[12:13], -v[10:11]
	s_delay_alu instid0(VALU_DEP_3) | instskip(NEXT) | instid1(VALU_DEP_2)
	v_fma_f64 v[10:11], v[61:62], s[56:57], v[8:9]
	v_add_f64 v[4:5], v[6:7], v[4:5]
	v_fma_f64 v[6:7], v[57:58], s[58:59], v[12:13]
	s_delay_alu instid0(VALU_DEP_1) | instskip(SKIP_1) | instid1(VALU_DEP_1)
	v_add_f64 v[0:1], v[6:7], v[0:1]
	v_fma_f64 v[6:7], v[51:52], s[36:37], -v[14:15]
	v_add_f64 v[4:5], v[6:7], v[4:5]
	v_fma_f64 v[6:7], v[49:50], s[8:9], v[16:17]
	s_delay_alu instid0(VALU_DEP_1) | instskip(SKIP_1) | instid1(VALU_DEP_1)
	v_add_f64 v[0:1], v[6:7], v[0:1]
	v_fma_f64 v[6:7], v[39:40], s[6:7], -v[18:19]
	;; [unrolled: 5-line block ×4, first 2 shown]
	v_add_f64 v[4:5], v[6:7], v[4:5]
	v_fma_f64 v[6:7], v[37:38], s[50:51], v[202:203]
	s_delay_alu instid0(VALU_DEP_2) | instskip(NEXT) | instid1(VALU_DEP_2)
	v_add_f64 v[200:201], v[2:3], v[4:5]
	v_add_f64 v[198:199], v[6:7], v[0:1]
	v_mul_f64 v[0:1], v[182:183], s[6:7]
	v_mul_f64 v[4:5], v[180:181], s[52:53]
	s_delay_alu instid0(VALU_DEP_2) | instskip(NEXT) | instid1(VALU_DEP_2)
	v_fma_f64 v[2:3], v[55:56], s[8:9], v[0:1]
	v_fma_f64 v[6:7], v[53:54], s[6:7], v[4:5]
	;; [unrolled: 1-line block ×3, first 2 shown]
	s_delay_alu instid0(VALU_DEP_3) | instskip(NEXT) | instid1(VALU_DEP_3)
	v_add_f64 v[2:3], v[2:3], v[208:209]
	v_add_f64 v[6:7], v[6:7], v[210:211]
	s_delay_alu instid0(VALU_DEP_3) | instskip(NEXT) | instid1(VALU_DEP_3)
	v_add_f64 v[0:1], v[0:1], v[94:95]
	v_add_f64 v[2:3], v[10:11], v[2:3]
	v_mul_f64 v[10:11], v[174:175], s[30:31]
	s_delay_alu instid0(VALU_DEP_1) | instskip(NEXT) | instid1(VALU_DEP_1)
	v_fma_f64 v[12:13], v[59:60], s[10:11], v[10:11]
	v_add_f64 v[6:7], v[12:13], v[6:7]
	v_mul_f64 v[12:13], v[154:155], s[16:17]
	s_delay_alu instid0(VALU_DEP_1) | instskip(NEXT) | instid1(VALU_DEP_1)
	v_fma_f64 v[14:15], v[57:58], s[48:49], v[12:13]
	;; [unrolled: 4-line block ×5, first 2 shown]
	v_add_f64 v[6:7], v[20:21], v[6:7]
	v_mul_f64 v[20:21], v[140:141], s[34:35]
	v_mul_f64 v[140:141], v[130:131], s[60:61]
	s_delay_alu instid0(VALU_DEP_2) | instskip(NEXT) | instid1(VALU_DEP_1)
	v_fma_f64 v[100:101], v[35:36], s[38:39], v[20:21]
	v_add_f64 v[2:3], v[100:101], v[2:3]
	v_mul_f64 v[100:101], v[138:139], s[54:55]
	s_delay_alu instid0(VALU_DEP_1) | instskip(NEXT) | instid1(VALU_DEP_1)
	v_fma_f64 v[138:139], v[31:32], s[34:35], v[100:101]
	v_add_f64 v[6:7], v[138:139], v[6:7]
	v_fma_f64 v[138:139], v[29:30], s[40:41], v[136:137]
	s_delay_alu instid0(VALU_DEP_1) | instskip(SKIP_1) | instid1(VALU_DEP_1)
	v_add_f64 v[2:3], v[138:139], v[2:3]
	v_fma_f64 v[138:139], v[33:34], s[24:25], v[134:135]
	v_add_f64 v[6:7], v[138:139], v[6:7]
	v_mul_f64 v[138:139], v[132:133], s[12:13]
	s_delay_alu instid0(VALU_DEP_1) | instskip(NEXT) | instid1(VALU_DEP_1)
	v_fma_f64 v[130:131], v[37:38], s[26:27], v[138:139]
	v_add_f64 v[130:131], v[130:131], v[2:3]
	v_fma_f64 v[2:3], v[70:71], s[12:13], v[140:141]
	s_delay_alu instid0(VALU_DEP_1) | instskip(SKIP_3) | instid1(VALU_DEP_3)
	v_add_f64 v[132:133], v[2:3], v[6:7]
	v_fma_f64 v[2:3], v[53:54], s[6:7], -v[4:5]
	v_fma_f64 v[4:5], v[61:62], s[30:31], v[8:9]
	v_fma_f64 v[6:7], v[70:71], s[12:13], -v[140:141]
	v_add_f64 v[2:3], v[2:3], v[96:97]
	s_delay_alu instid0(VALU_DEP_3) | instskip(SKIP_1) | instid1(VALU_DEP_1)
	v_add_f64 v[0:1], v[4:5], v[0:1]
	v_fma_f64 v[4:5], v[59:60], s[10:11], -v[10:11]
	v_add_f64 v[2:3], v[4:5], v[2:3]
	v_fma_f64 v[4:5], v[57:58], s[18:19], v[12:13]
	s_delay_alu instid0(VALU_DEP_1) | instskip(SKIP_1) | instid1(VALU_DEP_1)
	v_add_f64 v[0:1], v[4:5], v[0:1]
	v_fma_f64 v[4:5], v[51:52], s[16:17], -v[14:15]
	v_add_f64 v[2:3], v[4:5], v[2:3]
	v_fma_f64 v[4:5], v[49:50], s[42:43], v[16:17]
	s_delay_alu instid0(VALU_DEP_1) | instskip(SKIP_1) | instid1(VALU_DEP_1)
	;; [unrolled: 5-line block ×4, first 2 shown]
	v_add_f64 v[0:1], v[4:5], v[0:1]
	v_fma_f64 v[4:5], v[33:34], s[24:25], -v[134:135]
	v_add_f64 v[2:3], v[4:5], v[2:3]
	v_fma_f64 v[4:5], v[37:38], s[60:61], v[138:139]
	s_delay_alu instid0(VALU_DEP_2) | instskip(NEXT) | instid1(VALU_DEP_2)
	v_add_f64 v[136:137], v[6:7], v[2:3]
	v_add_f64 v[134:135], v[4:5], v[0:1]
	scratch_load_b64 v[4:5], off, off offset:204 ; 8-byte Folded Reload
	v_fma_f64 v[0:1], v[55:56], s[56:57], v[244:245]
	v_fma_f64 v[2:3], v[53:54], s[10:11], -v[246:247]
	v_fma_f64 v[6:7], v[70:71], s[36:37], -v[63:64]
	s_delay_alu instid0(VALU_DEP_3) | instskip(SKIP_1) | instid1(VALU_DEP_3)
	v_add_f64 v[0:1], v[0:1], v[98:99]
	s_waitcnt vmcnt(0)
	v_add_f64 v[2:3], v[2:3], v[4:5]
	v_fma_f64 v[4:5], v[61:62], s[18:19], v[248:249]
	s_delay_alu instid0(VALU_DEP_1) | instskip(SKIP_1) | instid1(VALU_DEP_1)
	v_add_f64 v[0:1], v[4:5], v[0:1]
	v_fma_f64 v[4:5], v[59:60], s[16:17], -v[250:251]
	v_add_f64 v[2:3], v[4:5], v[2:3]
	v_fma_f64 v[4:5], v[57:58], s[38:39], v[252:253]
	s_delay_alu instid0(VALU_DEP_1) | instskip(SKIP_1) | instid1(VALU_DEP_1)
	v_add_f64 v[0:1], v[4:5], v[0:1]
	v_fma_f64 v[4:5], v[51:52], s[34:35], -v[254:255]
	v_add_f64 v[2:3], v[4:5], v[2:3]
	v_fma_f64 v[4:5], v[49:50], s[46:47], v[41:42]
	s_delay_alu instid0(VALU_DEP_1) | instskip(SKIP_1) | instid1(VALU_DEP_1)
	v_add_f64 v[0:1], v[4:5], v[0:1]
	v_fma_f64 v[4:5], v[39:40], s[28:29], -v[43:44]
	v_add_f64 v[2:3], v[4:5], v[2:3]
	v_fma_f64 v[4:5], v[35:36], s[60:61], v[45:46]
	s_delay_alu instid0(VALU_DEP_1) | instskip(SKIP_1) | instid1(VALU_DEP_1)
	v_add_f64 v[0:1], v[4:5], v[0:1]
	v_fma_f64 v[4:5], v[31:32], s[12:13], -v[23:24]
	v_add_f64 v[2:3], v[4:5], v[2:3]
	v_fma_f64 v[4:5], v[29:30], s[8:9], v[47:48]
	s_delay_alu instid0(VALU_DEP_1) | instskip(SKIP_1) | instid1(VALU_DEP_1)
	v_add_f64 v[0:1], v[4:5], v[0:1]
	v_fma_f64 v[4:5], v[33:34], s[6:7], -v[67:68]
	v_add_f64 v[2:3], v[4:5], v[2:3]
	v_fma_f64 v[4:5], v[37:38], s[42:43], v[65:66]
	s_delay_alu instid0(VALU_DEP_2)
	v_add_f64 v[140:141], v[6:7], v[2:3]
	scratch_load_b64 v[2:3], off, off offset:196 ; 8-byte Folded Reload
	v_add_f64 v[138:139], v[4:5], v[0:1]
	scratch_load_b64 v[4:5], off, off offset:188 ; 8-byte Folded Reload
	v_fma_f64 v[0:1], v[55:56], s[46:47], v[216:217]
	v_fma_f64 v[6:7], v[70:71], s[16:17], -v[242:243]
	s_waitcnt vmcnt(1)
	s_delay_alu instid0(VALU_DEP_2) | instskip(SKIP_2) | instid1(VALU_DEP_1)
	v_add_f64 v[0:1], v[0:1], v[2:3]
	v_fma_f64 v[2:3], v[53:54], s[28:29], -v[218:219]
	s_waitcnt vmcnt(0)
	v_add_f64 v[2:3], v[2:3], v[4:5]
	v_fma_f64 v[4:5], v[61:62], s[40:41], v[220:221]
	s_delay_alu instid0(VALU_DEP_1) | instskip(SKIP_1) | instid1(VALU_DEP_1)
	v_add_f64 v[0:1], v[4:5], v[0:1]
	v_fma_f64 v[4:5], v[59:60], s[24:25], -v[222:223]
	v_add_f64 v[2:3], v[4:5], v[2:3]
	v_fma_f64 v[4:5], v[57:58], s[52:53], v[224:225]
	s_delay_alu instid0(VALU_DEP_1) | instskip(SKIP_1) | instid1(VALU_DEP_1)
	v_add_f64 v[0:1], v[4:5], v[0:1]
	v_fma_f64 v[4:5], v[51:52], s[6:7], -v[226:227]
	v_add_f64 v[2:3], v[4:5], v[2:3]
	v_fma_f64 v[4:5], v[49:50], s[38:39], v[228:229]
	s_delay_alu instid0(VALU_DEP_1) | instskip(SKIP_1) | instid1(VALU_DEP_1)
	v_add_f64 v[0:1], v[4:5], v[0:1]
	v_fma_f64 v[4:5], v[39:40], s[34:35], -v[230:231]
	v_add_f64 v[2:3], v[4:5], v[2:3]
	v_fma_f64 v[4:5], v[35:36], s[30:31], v[232:233]
	s_delay_alu instid0(VALU_DEP_1) | instskip(SKIP_1) | instid1(VALU_DEP_1)
	v_add_f64 v[0:1], v[4:5], v[0:1]
	v_fma_f64 v[4:5], v[31:32], s[10:11], -v[234:235]
	v_add_f64 v[2:3], v[4:5], v[2:3]
	v_fma_f64 v[4:5], v[29:30], s[58:59], v[236:237]
	s_delay_alu instid0(VALU_DEP_1) | instskip(SKIP_1) | instid1(VALU_DEP_1)
	v_add_f64 v[0:1], v[4:5], v[0:1]
	v_fma_f64 v[4:5], v[33:34], s[36:37], -v[238:239]
	v_add_f64 v[2:3], v[4:5], v[2:3]
	v_fma_f64 v[4:5], v[37:38], s[18:19], v[240:241]
	s_delay_alu instid0(VALU_DEP_2)
	v_add_f64 v[100:101], v[6:7], v[2:3]
	scratch_load_b64 v[2:3], off, off offset:180 ; 8-byte Folded Reload
	v_add_f64 v[98:99], v[4:5], v[0:1]
	scratch_load_b64 v[4:5], off, off offset:172 ; 8-byte Folded Reload
	v_fma_f64 v[0:1], v[55:56], s[42:43], v[146:147]
	v_fma_f64 v[6:7], v[70:71], s[10:11], -v[184:185]
	s_waitcnt vmcnt(1)
	s_delay_alu instid0(VALU_DEP_2) | instskip(SKIP_2) | instid1(VALU_DEP_1)
	v_add_f64 v[0:1], v[0:1], v[2:3]
	v_fma_f64 v[2:3], v[53:54], s[36:37], -v[148:149]
	;; [unrolled: 39-line block ×3, first 2 shown]
	s_waitcnt vmcnt(0)
	v_add_f64 v[2:3], v[2:3], v[4:5]
	v_fma_f64 v[4:5], v[61:62], s[42:43], v[106:107]
	s_delay_alu instid0(VALU_DEP_1) | instskip(SKIP_1) | instid1(VALU_DEP_1)
	v_add_f64 v[0:1], v[4:5], v[0:1]
	v_fma_f64 v[4:5], v[59:60], s[36:37], -v[108:109]
	v_add_f64 v[2:3], v[4:5], v[2:3]
	v_fma_f64 v[4:5], v[57:58], s[46:47], v[110:111]
	s_delay_alu instid0(VALU_DEP_1) | instskip(SKIP_1) | instid1(VALU_DEP_1)
	v_add_f64 v[0:1], v[4:5], v[0:1]
	v_fma_f64 v[4:5], v[51:52], s[28:29], -v[112:113]
	;; [unrolled: 5-line block ×5, first 2 shown]
	v_add_f64 v[2:3], v[4:5], v[2:3]
	v_fma_f64 v[4:5], v[37:38], s[52:53], v[126:127]
	s_delay_alu instid0(VALU_DEP_2) | instskip(NEXT) | instid1(VALU_DEP_2)
	v_add_f64 v[104:105], v[6:7], v[2:3]
	v_add_f64 v[102:103], v[4:5], v[0:1]
	s_clause 0x3
	scratch_load_b64 v[0:1], off, off offset:68
	scratch_load_b64 v[4:5], off, off offset:4
	;; [unrolled: 1-line block ×4, first 2 shown]
	s_waitcnt vmcnt(3)
	v_fma_f64 v[0:1], v[55:56], s[48:49], v[0:1]
	s_waitcnt vmcnt(2)
	s_delay_alu instid0(VALU_DEP_1) | instskip(SKIP_4) | instid1(VALU_DEP_1)
	v_add_f64 v[0:1], v[0:1], v[4:5]
	scratch_load_b64 v[4:5], off, off offset:20 ; 8-byte Folded Reload
	s_waitcnt vmcnt(2)
	v_fma_f64 v[2:3], v[53:54], s[16:17], -v[2:3]
	s_waitcnt vmcnt(0)
	v_add_f64 v[2:3], v[2:3], v[4:5]
	scratch_load_b64 v[4:5], off, off offset:92 ; 8-byte Folded Reload
	s_waitcnt vmcnt(0)
	v_fma_f64 v[4:5], v[61:62], s[38:39], v[4:5]
	s_delay_alu instid0(VALU_DEP_1) | instskip(SKIP_3) | instid1(VALU_DEP_1)
	v_add_f64 v[0:1], v[4:5], v[0:1]
	scratch_load_b64 v[4:5], off, off offset:116 ; 8-byte Folded Reload
	s_waitcnt vmcnt(0)
	v_fma_f64 v[4:5], v[57:58], s[26:27], v[4:5]
	v_add_f64 v[0:1], v[4:5], v[0:1]
	scratch_load_b64 v[4:5], off, off offset:132 ; 8-byte Folded Reload
	s_waitcnt vmcnt(0)
	v_fma_f64 v[4:5], v[49:50], s[50:51], v[4:5]
	s_delay_alu instid0(VALU_DEP_1) | instskip(SKIP_3) | instid1(VALU_DEP_1)
	v_add_f64 v[0:1], v[4:5], v[0:1]
	scratch_load_b64 v[4:5], off, off offset:148 ; 8-byte Folded Reload
	s_waitcnt vmcnt(0)
	v_fma_f64 v[4:5], v[35:36], s[42:43], v[4:5]
	v_add_f64 v[0:1], v[4:5], v[0:1]
	scratch_load_b64 v[4:5], off, off offset:164 ; 8-byte Folded Reload
	s_waitcnt vmcnt(0)
	v_fma_f64 v[4:5], v[29:30], s[30:31], v[4:5]
	s_delay_alu instid0(VALU_DEP_1) | instskip(SKIP_1) | instid1(VALU_DEP_1)
	v_add_f64 v[0:1], v[4:5], v[0:1]
	v_fma_f64 v[4:5], v[37:38], s[46:47], v[90:91]
	v_add_f64 v[29:30], v[4:5], v[0:1]
	scratch_load_b32 v1, off, off           ; 4-byte Folded Reload
	v_fma_f64 v[6:7], v[59:60], s[34:35], -v[6:7]
	v_mul_u32_u24_e32 v0, 0x770, v69
	s_delay_alu instid0(VALU_DEP_2) | instskip(SKIP_3) | instid1(VALU_DEP_1)
	v_add_f64 v[2:3], v[6:7], v[2:3]
	scratch_load_b64 v[6:7], off, off offset:124 ; 8-byte Folded Reload
	s_waitcnt vmcnt(1)
	v_lshlrev_b32_e32 v49, 4, v1
	v_add3_u32 v0, 0, v0, v49
	ds_store_b128 v0, v[186:189]
	s_waitcnt vmcnt(0)
	v_fma_f64 v[6:7], v[51:52], s[12:13], -v[6:7]
	s_delay_alu instid0(VALU_DEP_1) | instskip(SKIP_3) | instid1(VALU_DEP_1)
	v_add_f64 v[2:3], v[6:7], v[2:3]
	scratch_load_b64 v[6:7], off, off offset:140 ; 8-byte Folded Reload
	s_waitcnt vmcnt(0)
	v_fma_f64 v[6:7], v[39:40], s[24:25], -v[6:7]
	v_add_f64 v[2:3], v[6:7], v[2:3]
	scratch_load_b64 v[6:7], off, off offset:156 ; 8-byte Folded Reload
	s_waitcnt vmcnt(0)
	v_fma_f64 v[6:7], v[31:32], s[36:37], -v[6:7]
	s_delay_alu instid0(VALU_DEP_1) | instskip(SKIP_1) | instid1(VALU_DEP_1)
	v_add_f64 v[2:3], v[6:7], v[2:3]
	v_fma_f64 v[6:7], v[33:34], s[10:11], -v[88:89]
	v_add_f64 v[2:3], v[6:7], v[2:3]
	v_fma_f64 v[6:7], v[70:71], s[28:29], -v[92:93]
	s_delay_alu instid0(VALU_DEP_1)
	v_add_f64 v[31:32], v[6:7], v[2:3]
	ds_store_b128 v0, v[76:79] offset:112
	ds_store_b128 v0, v[72:75] offset:224
	;; [unrolled: 1-line block ×16, first 2 shown]
	s_waitcnt lgkmcnt(0)
	s_waitcnt_vscnt null, 0x0
	s_barrier
	buffer_gl0_inv
	s_and_saveexec_b32 s33, s21
	s_cbranch_execz .LBB0_19
; %bb.18:
	scratch_load_b64 v[80:81], off, off offset:216 ; 8-byte Folded Reload
	v_mul_hi_u32 v0, 0xf0f0f10, v69
	s_add_i32 s21, 0, 0x7e70
	s_delay_alu instid0(VALU_DEP_1) | instskip(NEXT) | instid1(VALU_DEP_1)
	v_mul_u32_u24_e32 v0, 17, v0
	v_sub_nc_u32_e32 v82, v69, v0
	s_delay_alu instid0(VALU_DEP_1) | instskip(SKIP_1) | instid1(VALU_DEP_1)
	v_add_nc_u32_e32 v0, 0x110, v82
	s_waitcnt vmcnt(0)
	v_mul_lo_u32 v9, v0, v80
	v_mul_lo_u32 v50, 0xffffffef, v80
	s_delay_alu instid0(VALU_DEP_2) | instskip(SKIP_1) | instid1(VALU_DEP_3)
	v_lshrrev_b32_e32 v0, 2, v9
	v_and_b32_e32 v1, 63, v9
	v_add_nc_u32_e32 v10, v9, v50
	s_delay_alu instid0(VALU_DEP_3) | instskip(NEXT) | instid1(VALU_DEP_3)
	v_and_b32_e32 v0, 0x3f0, v0
	v_lshl_add_u32 v5, v1, 4, 0
	s_delay_alu instid0(VALU_DEP_3)
	v_lshrrev_b32_e32 v11, 8, v10
	v_and_b32_e32 v12, 63, v10
	v_add_nc_u32_e32 v17, v10, v50
	v_add_nc_u32_e32 v0, s21, v0
	ds_load_b128 v[1:4], v0 offset:1024
	ds_load_b128 v[5:8], v5 offset:32368
	v_lshrrev_b32_e32 v0, 8, v9
	v_lshrrev_b32_e32 v9, 2, v10
	v_and_b32_e32 v11, 0x3f0, v11
	v_lshl_add_u32 v12, v12, 4, 0
	v_and_b32_e32 v19, 63, v17
	v_and_b32_e32 v0, 0x3f0, v0
	;; [unrolled: 1-line block ×3, first 2 shown]
	v_add_nc_u32_e32 v11, s21, v11
	v_add_nc_u32_e32 v18, v17, v50
	v_lshl_add_u32 v19, v19, 4, 0
	v_add_nc_u32_e32 v0, s21, v0
	v_add_nc_u32_e32 v9, s21, v9
	ds_load_b128 v[13:16], v0 offset:2048
	ds_load_b128 v[25:28], v12 offset:32368
	;; [unrolled: 1-line block ×4, first 2 shown]
	v_lshrrev_b32_e32 v0, 2, v17
	v_lshrrev_b32_e32 v20, 2, v18
	v_and_b32_e32 v21, 63, v18
	s_waitcnt lgkmcnt(4)
	v_mul_f64 v[51:52], v[7:8], v[3:4]
	v_mul_f64 v[3:4], v[5:6], v[3:4]
	v_and_b32_e32 v0, 0x3f0, v0
	v_add_nc_u32_e32 v65, v18, v50
	v_and_b32_e32 v20, 0x3f0, v20
	v_lshrrev_b32_e32 v17, 8, v17
	v_lshrrev_b32_e32 v22, 8, v18
	v_add_nc_u32_e32 v0, s21, v0
	ds_load_b128 v[33:36], v19 offset:32368
	ds_load_b128 v[37:40], v0 offset:1024
	v_lshl_add_u32 v0, v21, 4, 0
	v_add_nc_u32_e32 v19, s21, v20
	ds_load_b128 v[41:44], v0 offset:32368
	ds_load_b128 v[45:48], v19 offset:1024
	s_waitcnt lgkmcnt(5)
	v_mul_f64 v[53:54], v[27:28], v[31:32]
	v_mul_f64 v[31:32], v[25:26], v[31:32]
	v_and_b32_e32 v0, 0x3f0, v17
	v_and_b32_e32 v17, 0x3f0, v22
	s_delay_alu instid0(VALU_DEP_2) | instskip(NEXT) | instid1(VALU_DEP_2)
	v_add_nc_u32_e32 v0, s21, v0
	v_add_nc_u32_e32 v17, s21, v17
	ds_load_b128 v[21:24], v0 offset:2048
	ds_load_b128 v[17:20], v17 offset:2048
	s_waitcnt lgkmcnt(4)
	v_mul_f64 v[55:56], v[35:36], v[39:40]
	v_fma_f64 v[85:86], v[5:6], v[1:2], -v[51:52]
	v_fma_f64 v[59:60], v[7:8], v[1:2], v[3:4]
	v_lshrrev_b32_e32 v2, 2, v65
	v_and_b32_e32 v3, 63, v65
	v_mul_f64 v[0:1], v[33:34], v[39:40]
	v_add_nc_u32_e32 v4, v65, v50
	s_waitcnt lgkmcnt(2)
	v_mul_f64 v[39:40], v[43:44], v[47:48]
	v_and_b32_e32 v2, 0x3f0, v2
	v_lshl_add_u32 v3, v3, 4, 0
	v_mul_f64 v[47:48], v[41:42], v[47:48]
	s_delay_alu instid0(VALU_DEP_3)
	v_add_nc_u32_e32 v2, s21, v2
	v_fma_f64 v[61:62], v[25:26], v[29:30], -v[53:54]
	v_fma_f64 v[63:64], v[27:28], v[29:30], v[31:32]
	ds_load_b128 v[25:28], v2 offset:1024
	ds_load_b128 v[29:32], v3 offset:32368
	v_lshrrev_b32_e32 v2, 8, v65
	v_lshrrev_b32_e32 v3, 8, v4
	s_delay_alu instid0(VALU_DEP_2) | instskip(NEXT) | instid1(VALU_DEP_2)
	v_and_b32_e32 v2, 0x3f0, v2
	v_and_b32_e32 v3, 0x3f0, v3
	s_delay_alu instid0(VALU_DEP_2) | instskip(SKIP_1) | instid1(VALU_DEP_3)
	v_add_nc_u32_e32 v2, s21, v2
	v_fma_f64 v[65:66], v[33:34], v[37:38], -v[55:56]
	v_add_nc_u32_e32 v3, s21, v3
	ds_load_b128 v[228:231], v2 offset:2048
	ds_load_b128 v[220:223], v3 offset:2048
	v_add_nc_u32_e32 v2, v4, v50
	s_waitcnt lgkmcnt(2)
	v_mul_f64 v[33:34], v[31:32], v[27:28]
	v_mul_f64 v[27:28], v[29:30], v[27:28]
	v_fma_f64 v[67:68], v[35:36], v[37:38], v[0:1]
	v_lshrrev_b32_e32 v0, 2, v4
	v_and_b32_e32 v1, 63, v4
	v_fma_f64 v[70:71], v[41:42], v[45:46], -v[39:40]
	v_add_nc_u32_e32 v5, v2, v50
	v_fma_f64 v[72:73], v[43:44], v[45:46], v[47:48]
	v_and_b32_e32 v0, 0x3f0, v0
	v_lshl_add_u32 v1, v1, 4, 0
	s_delay_alu instid0(VALU_DEP_2)
	v_add_nc_u32_e32 v0, s21, v0
	v_fma_f64 v[74:75], v[29:30], v[25:26], -v[33:34]
	v_fma_f64 v[76:77], v[31:32], v[25:26], v[27:28]
	ds_load_b128 v[25:28], v1 offset:32368
	ds_load_b128 v[29:32], v0 offset:1024
	v_lshrrev_b32_e32 v0, 2, v2
	v_and_b32_e32 v1, 63, v2
	v_lshrrev_b32_e32 v2, 8, v2
	s_delay_alu instid0(VALU_DEP_3) | instskip(NEXT) | instid1(VALU_DEP_3)
	v_and_b32_e32 v0, 0x3f0, v0
	v_lshl_add_u32 v4, v1, 4, 0
	s_delay_alu instid0(VALU_DEP_3) | instskip(NEXT) | instid1(VALU_DEP_3)
	v_and_b32_e32 v2, 0x3f0, v2
	v_add_nc_u32_e32 v3, s21, v0
	s_delay_alu instid0(VALU_DEP_2) | instskip(SKIP_3) | instid1(VALU_DEP_2)
	v_add_nc_u32_e32 v2, s21, v2
	s_waitcnt lgkmcnt(0)
	v_mul_f64 v[33:34], v[27:28], v[31:32]
	v_mul_f64 v[31:32], v[25:26], v[31:32]
	v_fma_f64 v[78:79], v[25:26], v[29:30], -v[33:34]
	ds_load_b128 v[33:36], v3 offset:1024
	ds_load_b128 v[37:40], v4 offset:32368
	v_lshrrev_b32_e32 v3, 8, v5
	v_fma_f64 v[0:1], v[27:28], v[29:30], v[31:32]
	s_delay_alu instid0(VALU_DEP_2) | instskip(NEXT) | instid1(VALU_DEP_1)
	v_and_b32_e32 v3, 0x3f0, v3
	v_add_nc_u32_e32 v3, s21, v3
	ds_load_b128 v[246:249], v2 offset:2048
	ds_load_b128 v[224:227], v3 offset:2048
	v_lshrrev_b32_e32 v2, 2, v5
	v_and_b32_e32 v3, 63, v5
	s_waitcnt lgkmcnt(2)
	v_mul_f64 v[41:42], v[39:40], v[35:36]
	v_mul_f64 v[35:36], v[37:38], v[35:36]
	v_and_b32_e32 v2, 0x3f0, v2
	v_lshl_add_u32 v3, v3, 4, 0
	s_delay_alu instid0(VALU_DEP_2)
	v_add_nc_u32_e32 v2, s21, v2
	v_fma_f64 v[30:31], v[37:38], v[33:34], -v[41:42]
	v_fma_f64 v[83:84], v[39:40], v[33:34], v[35:36]
	ds_load_b128 v[33:36], v3 offset:32368
	ds_load_b128 v[37:40], v2 offset:1024
	v_add_nc_u32_e32 v2, v5, v50
	s_delay_alu instid0(VALU_DEP_1) | instskip(SKIP_3) | instid1(VALU_DEP_4)
	v_add_nc_u32_e32 v6, v2, v50
	v_lshrrev_b32_e32 v3, 2, v2
	v_lshrrev_b32_e32 v4, 8, v2
	v_and_b32_e32 v2, 63, v2
	v_lshrrev_b32_e32 v5, 8, v6
	s_delay_alu instid0(VALU_DEP_4) | instskip(NEXT) | instid1(VALU_DEP_4)
	v_and_b32_e32 v3, 0x3f0, v3
	v_and_b32_e32 v4, 0x3f0, v4
	s_delay_alu instid0(VALU_DEP_4) | instskip(NEXT) | instid1(VALU_DEP_4)
	v_lshl_add_u32 v2, v2, 4, 0
	v_and_b32_e32 v5, 0x3f0, v5
	s_delay_alu instid0(VALU_DEP_4) | instskip(NEXT) | instid1(VALU_DEP_4)
	v_add_nc_u32_e32 v3, s21, v3
	v_add_nc_u32_e32 v4, s21, v4
	s_waitcnt lgkmcnt(0)
	v_mul_f64 v[41:42], v[35:36], v[39:40]
	v_add_nc_u32_e32 v5, s21, v5
	s_delay_alu instid0(VALU_DEP_2) | instskip(SKIP_1) | instid1(VALU_DEP_1)
	v_fma_f64 v[240:241], v[33:34], v[37:38], -v[41:42]
	v_mul_f64 v[33:34], v[33:34], v[39:40]
	v_fma_f64 v[88:89], v[35:36], v[37:38], v[33:34]
	ds_load_b128 v[41:44], v3 offset:1024
	ds_load_b128 v[45:48], v2 offset:32368
	;; [unrolled: 1-line block ×4, first 2 shown]
	v_lshrrev_b32_e32 v2, 2, v6
	v_and_b32_e32 v3, 63, v6
	s_delay_alu instid0(VALU_DEP_2) | instskip(NEXT) | instid1(VALU_DEP_2)
	v_and_b32_e32 v2, 0x3f0, v2
	v_lshl_add_u32 v3, v3, 4, 0
	s_delay_alu instid0(VALU_DEP_2) | instskip(SKIP_3) | instid1(VALU_DEP_2)
	v_add_nc_u32_e32 v2, s21, v2
	s_waitcnt lgkmcnt(2)
	v_mul_f64 v[51:52], v[47:48], v[43:44]
	v_mul_f64 v[43:44], v[45:46], v[43:44]
	v_fma_f64 v[90:91], v[45:46], v[41:42], -v[51:52]
	s_delay_alu instid0(VALU_DEP_2) | instskip(SKIP_3) | instid1(VALU_DEP_1)
	v_fma_f64 v[92:93], v[47:48], v[41:42], v[43:44]
	ds_load_b128 v[41:44], v3 offset:32368
	ds_load_b128 v[45:48], v2 offset:1024
	v_add_nc_u32_e32 v2, v6, v50
	v_add_nc_u32_e32 v7, v2, v50
	v_lshrrev_b32_e32 v3, 2, v2
	v_lshrrev_b32_e32 v6, 8, v2
	v_and_b32_e32 v2, 63, v2
	s_delay_alu instid0(VALU_DEP_4) | instskip(NEXT) | instid1(VALU_DEP_4)
	v_lshrrev_b32_e32 v8, 8, v7
	v_and_b32_e32 v3, 0x3f0, v3
	s_delay_alu instid0(VALU_DEP_4) | instskip(NEXT) | instid1(VALU_DEP_4)
	v_and_b32_e32 v6, 0x3f0, v6
	v_lshl_add_u32 v2, v2, 4, 0
	s_delay_alu instid0(VALU_DEP_4) | instskip(NEXT) | instid1(VALU_DEP_4)
	v_and_b32_e32 v8, 0x3f0, v8
	v_add_nc_u32_e32 v3, s21, v3
	s_delay_alu instid0(VALU_DEP_4) | instskip(SKIP_3) | instid1(VALU_DEP_2)
	v_add_nc_u32_e32 v6, s21, v6
	s_waitcnt lgkmcnt(0)
	v_mul_f64 v[51:52], v[43:44], v[47:48]
	v_add_nc_u32_e32 v8, s21, v8
	v_fma_f64 v[94:95], v[41:42], v[45:46], -v[51:52]
	v_mul_f64 v[41:42], v[41:42], v[47:48]
	s_delay_alu instid0(VALU_DEP_1)
	v_fma_f64 v[4:5], v[43:44], v[45:46], v[41:42]
	ds_load_b128 v[51:54], v3 offset:1024
	ds_load_b128 v[100:103], v2 offset:32368
	ds_load_b128 v[45:48], v6 offset:2048
	ds_load_b128 v[41:44], v8 offset:2048
	v_lshrrev_b32_e32 v2, 2, v7
	v_and_b32_e32 v3, 63, v7
	s_delay_alu instid0(VALU_DEP_2) | instskip(NEXT) | instid1(VALU_DEP_2)
	v_and_b32_e32 v2, 0x3f0, v2
	v_lshl_add_u32 v3, v3, 4, 0
	s_delay_alu instid0(VALU_DEP_2) | instskip(SKIP_3) | instid1(VALU_DEP_2)
	v_add_nc_u32_e32 v2, s21, v2
	s_waitcnt lgkmcnt(2)
	v_mul_f64 v[55:56], v[102:103], v[53:54]
	v_mul_f64 v[53:54], v[100:101], v[53:54]
	v_fma_f64 v[238:239], v[100:101], v[51:52], -v[55:56]
	s_delay_alu instid0(VALU_DEP_2) | instskip(SKIP_3) | instid1(VALU_DEP_1)
	v_fma_f64 v[242:243], v[102:103], v[51:52], v[53:54]
	ds_load_b128 v[51:54], v3 offset:32368
	ds_load_b128 v[104:107], v2 offset:1024
	v_add_nc_u32_e32 v2, v7, v50
	v_lshrrev_b32_e32 v3, 2, v2
	s_waitcnt lgkmcnt(0)
	v_mul_f64 v[55:56], v[53:54], v[106:107]
	s_delay_alu instid0(VALU_DEP_1) | instskip(SKIP_1) | instid1(VALU_DEP_1)
	v_fma_f64 v[244:245], v[51:52], v[104:105], -v[55:56]
	v_mul_f64 v[51:52], v[51:52], v[106:107]
	v_fma_f64 v[250:251], v[53:54], v[104:105], v[51:52]
	v_add_nc_u32_e32 v51, v2, v50
	v_and_b32_e32 v52, 0x3f0, v3
	v_lshrrev_b32_e32 v3, 8, v2
	v_and_b32_e32 v54, 63, v2
	s_delay_alu instid0(VALU_DEP_4) | instskip(NEXT) | instid1(VALU_DEP_3)
	v_lshrrev_b32_e32 v2, 8, v51
	v_and_b32_e32 v53, 0x3f0, v3
	v_add_nc_u32_e32 v3, s21, v52
	s_delay_alu instid0(VALU_DEP_4) | instskip(NEXT) | instid1(VALU_DEP_4)
	v_lshl_add_u32 v6, v54, 4, 0
	v_and_b32_e32 v2, 0x3f0, v2
	s_delay_alu instid0(VALU_DEP_4) | instskip(NEXT) | instid1(VALU_DEP_2)
	v_add_nc_u32_e32 v7, s21, v53
	v_add_nc_u32_e32 v2, s21, v2
	ds_load_b128 v[106:109], v3 offset:1024
	ds_load_b128 v[110:113], v6 offset:32368
	;; [unrolled: 1-line block ×4, first 2 shown]
	v_add_nc_u32_e32 v2, v51, v50
	s_delay_alu instid0(VALU_DEP_1) | instskip(SKIP_3) | instid1(VALU_DEP_4)
	v_add_nc_u32_e32 v6, v2, v50
	v_lshrrev_b32_e32 v3, 2, v2
	v_lshrrev_b32_e32 v7, 8, v2
	v_and_b32_e32 v2, 63, v2
	v_lshrrev_b32_e32 v8, 8, v6
	s_delay_alu instid0(VALU_DEP_4) | instskip(NEXT) | instid1(VALU_DEP_4)
	v_and_b32_e32 v3, 0x3f0, v3
	v_and_b32_e32 v7, 0x3f0, v7
	s_delay_alu instid0(VALU_DEP_4) | instskip(NEXT) | instid1(VALU_DEP_4)
	v_lshl_add_u32 v2, v2, 4, 0
	v_and_b32_e32 v8, 0x3f0, v8
	s_delay_alu instid0(VALU_DEP_4)
	v_add_nc_u32_e32 v3, s21, v3
	s_waitcnt lgkmcnt(2)
	v_mul_f64 v[114:115], v[112:113], v[108:109]
	v_mul_f64 v[108:109], v[110:111], v[108:109]
	v_add_nc_u32_e32 v7, s21, v7
	v_add_nc_u32_e32 v8, s21, v8
	s_delay_alu instid0(VALU_DEP_4) | instskip(NEXT) | instid1(VALU_DEP_4)
	v_fma_f64 v[202:203], v[110:111], v[106:107], -v[114:115]
	v_fma_f64 v[204:205], v[112:113], v[106:107], v[108:109]
	ds_load_b128 v[106:109], v3 offset:1024
	ds_load_b128 v[110:113], v2 offset:32368
	;; [unrolled: 1-line block ×4, first 2 shown]
	v_lshrrev_b32_e32 v2, 2, v6
	v_and_b32_e32 v3, 63, v6
	v_mul_f64 v[7:8], v[74:75], v[230:231]
	s_delay_alu instid0(VALU_DEP_3) | instskip(NEXT) | instid1(VALU_DEP_3)
	v_and_b32_e32 v2, 0x3f0, v2
	v_lshl_add_u32 v3, v3, 4, 0
	s_delay_alu instid0(VALU_DEP_2) | instskip(SKIP_3) | instid1(VALU_DEP_2)
	v_add_nc_u32_e32 v2, s21, v2
	s_waitcnt lgkmcnt(2)
	v_mul_f64 v[114:115], v[112:113], v[108:109]
	v_mul_f64 v[108:109], v[110:111], v[108:109]
	v_fma_f64 v[206:207], v[110:111], v[106:107], -v[114:115]
	s_delay_alu instid0(VALU_DEP_2)
	v_fma_f64 v[208:209], v[112:113], v[106:107], v[108:109]
	ds_load_b128 v[106:109], v3 offset:32368
	ds_load_b128 v[110:113], v2 offset:1024
	v_mul_lo_u32 v2, v82, v80
	scratch_store_b32 off, v82, off offset:84 ; 4-byte Folded Spill
	v_lshrrev_b32_e32 v3, 2, v2
	v_lshrrev_b32_e32 v6, 8, v2
	v_and_b32_e32 v2, 63, v2
	s_delay_alu instid0(VALU_DEP_3) | instskip(NEXT) | instid1(VALU_DEP_3)
	v_and_b32_e32 v3, 0x3f0, v3
	v_and_b32_e32 v6, 0x3f0, v6
	s_delay_alu instid0(VALU_DEP_3) | instskip(NEXT) | instid1(VALU_DEP_3)
	v_lshl_add_u32 v2, v2, 4, 0
	v_add_nc_u32_e32 v3, s21, v3
	s_waitcnt lgkmcnt(0)
	v_mul_f64 v[114:115], v[108:109], v[112:113]
	v_add_nc_u32_e32 v6, s21, v6
	s_delay_alu instid0(VALU_DEP_2) | instskip(SKIP_1) | instid1(VALU_DEP_1)
	v_fma_f64 v[210:211], v[106:107], v[110:111], -v[114:115]
	v_mul_f64 v[106:107], v[106:107], v[112:113]
	v_fma_f64 v[212:213], v[108:109], v[110:111], v[106:107]
	ds_load_b128 v[106:109], v3 offset:1024
	ds_load_b128 v[110:113], v2 offset:32368
	;; [unrolled: 1-line block ×3, first 2 shown]
	v_lshrrev_b32_e32 v2, 2, v51
	v_and_b32_e32 v3, 63, v51
	s_delay_alu instid0(VALU_DEP_2) | instskip(NEXT) | instid1(VALU_DEP_2)
	v_and_b32_e32 v2, 0x3f0, v2
	v_lshl_add_u32 v3, v3, 4, 0
	s_delay_alu instid0(VALU_DEP_2) | instskip(SKIP_3) | instid1(VALU_DEP_2)
	v_add_nc_u32_e32 v2, s21, v2
	s_waitcnt lgkmcnt(1)
	v_mul_f64 v[114:115], v[112:113], v[108:109]
	v_mul_f64 v[108:109], v[110:111], v[108:109]
	v_fma_f64 v[214:215], v[110:111], v[106:107], -v[114:115]
	s_delay_alu instid0(VALU_DEP_2) | instskip(SKIP_4) | instid1(VALU_DEP_1)
	v_fma_f64 v[216:217], v[112:113], v[106:107], v[108:109]
	ds_load_b128 v[106:109], v3 offset:32368
	ds_load_b128 v[110:113], v2 offset:1024
	s_waitcnt lgkmcnt(0)
	v_mul_f64 v[50:51], v[108:109], v[112:113]
	v_fma_f64 v[2:3], v[106:107], v[110:111], -v[50:51]
	v_mul_f64 v[50:51], v[106:107], v[112:113]
	scratch_store_b64 off, v[2:3], off offset:108 ; 8-byte Folded Spill
	v_fma_f64 v[2:3], v[108:109], v[110:111], v[50:51]
	scratch_store_b64 off, v[2:3], off offset:116 ; 8-byte Folded Spill
	v_lshlrev_b32_e32 v3, 8, v82
	v_mul_u32_u24_e32 v2, 0x70, v69
	global_load_b128 v[106:109], v3, s[22:23]
	v_add3_u32 v2, 0, v2, v49
	ds_load_b128 v[110:113], v2 offset:1904
	ds_load_b128 v[49:52], v2
	global_load_b128 v[118:121], v3, s[22:23] offset:16
	s_waitcnt vmcnt(1) lgkmcnt(1)
	v_mul_f64 v[114:115], v[110:111], v[108:109]
	v_mul_f64 v[108:109], v[112:113], v[108:109]
	s_delay_alu instid0(VALU_DEP_2) | instskip(NEXT) | instid1(VALU_DEP_2)
	v_fma_f64 v[168:169], v[112:113], v[106:107], v[114:115]
	v_fma_f64 v[252:253], v[110:111], v[106:107], -v[108:109]
	s_clause 0x1
	global_load_b128 v[108:111], v3, s[22:23] offset:240
	global_load_b128 v[126:129], v3, s[22:23] offset:224
	ds_load_b128 v[122:125], v2 offset:30464
	s_waitcnt vmcnt(1) lgkmcnt(0)
	v_mul_f64 v[106:107], v[122:123], v[110:111]
	v_mul_f64 v[110:111], v[124:125], v[110:111]
	s_delay_alu instid0(VALU_DEP_2) | instskip(NEXT) | instid1(VALU_DEP_2)
	v_fma_f64 v[101:102], v[124:125], v[108:109], v[106:107]
	v_fma_f64 v[124:125], v[122:123], v[108:109], -v[110:111]
	ds_load_b128 v[110:113], v2 offset:3808
	ds_load_b128 v[130:133], v2 offset:5712
	s_waitcnt lgkmcnt(1)
	v_mul_f64 v[122:123], v[110:111], v[120:121]
	s_delay_alu instid0(VALU_DEP_1) | instskip(SKIP_1) | instid1(VALU_DEP_1)
	v_fma_f64 v[254:255], v[112:113], v[118:119], v[122:123]
	v_mul_f64 v[112:113], v[112:113], v[120:121]
	v_fma_f64 v[57:58], v[110:111], v[118:119], -v[112:113]
	ds_load_b128 v[118:121], v2 offset:28560
	ds_load_b128 v[134:137], v2 offset:26656
	s_waitcnt vmcnt(0) lgkmcnt(1)
	v_mul_f64 v[110:111], v[118:119], v[128:129]
	v_mul_f64 v[112:113], v[120:121], v[128:129]
	s_delay_alu instid0(VALU_DEP_2) | instskip(NEXT) | instid1(VALU_DEP_2)
	v_fma_f64 v[122:123], v[120:121], v[126:127], v[110:111]
	v_fma_f64 v[111:112], v[118:119], v[126:127], -v[112:113]
	s_clause 0x3
	global_load_b128 v[118:121], v3, s[22:23] offset:32
	global_load_b128 v[138:141], v3, s[22:23] offset:48
	;; [unrolled: 1-line block ×4, first 2 shown]
	s_waitcnt vmcnt(3)
	v_mul_f64 v[126:127], v[130:131], v[120:121]
	v_mul_f64 v[120:121], v[132:133], v[120:121]
	s_delay_alu instid0(VALU_DEP_2) | instskip(NEXT) | instid1(VALU_DEP_2)
	v_fma_f64 v[128:129], v[132:133], v[118:119], v[126:127]
	v_fma_f64 v[132:133], v[130:131], v[118:119], -v[120:121]
	s_waitcnt vmcnt(1) lgkmcnt(0)
	v_mul_f64 v[118:119], v[134:135], v[144:145]
	v_mul_f64 v[120:121], v[136:137], v[144:145]
	s_delay_alu instid0(VALU_DEP_2) | instskip(NEXT) | instid1(VALU_DEP_2)
	v_fma_f64 v[117:118], v[136:137], v[142:143], v[118:119]
	v_fma_f64 v[119:120], v[134:135], v[142:143], -v[120:121]
	ds_load_b128 v[142:145], v2 offset:7616
	ds_load_b128 v[150:153], v2 offset:9520
	s_waitcnt lgkmcnt(1)
	v_mul_f64 v[126:127], v[142:143], v[140:141]
	s_delay_alu instid0(VALU_DEP_1) | instskip(SKIP_1) | instid1(VALU_DEP_1)
	v_fma_f64 v[134:135], v[144:145], v[138:139], v[126:127]
	v_mul_f64 v[126:127], v[144:145], v[140:141]
	v_fma_f64 v[136:137], v[142:143], v[138:139], -v[126:127]
	ds_load_b128 v[138:141], v2 offset:24752
	ds_load_b128 v[154:157], v2 offset:22848
	s_waitcnt vmcnt(0) lgkmcnt(1)
	v_mul_f64 v[126:127], v[138:139], v[148:149]
	v_mul_f64 v[130:131], v[140:141], v[148:149]
	s_delay_alu instid0(VALU_DEP_2)
	v_fma_f64 v[126:127], v[140:141], v[146:147], v[126:127]
	global_load_b128 v[140:143], v3, s[22:23] offset:112
	v_fma_f64 v[130:131], v[138:139], v[146:147], -v[130:131]
	ds_load_b128 v[144:147], v2 offset:15232
	ds_load_b128 v[190:193], v2 offset:17136
	global_load_b128 v[160:163], v3, s[22:23] offset:96
	s_waitcnt vmcnt(1) lgkmcnt(1)
	v_mul_f64 v[138:139], v[144:145], v[142:143]
	v_mul_f64 v[142:143], v[146:147], v[142:143]
	s_delay_alu instid0(VALU_DEP_2) | instskip(NEXT) | instid1(VALU_DEP_2)
	v_fma_f64 v[138:139], v[146:147], v[140:141], v[138:139]
	v_fma_f64 v[140:141], v[144:145], v[140:141], -v[142:143]
	s_clause 0x1
	global_load_b128 v[142:145], v3, s[22:23] offset:64
	global_load_b128 v[164:167], v3, s[22:23] offset:80
	s_waitcnt vmcnt(1)
	v_mul_f64 v[146:147], v[150:151], v[144:145]
	v_mul_f64 v[144:145], v[152:153], v[144:145]
	s_delay_alu instid0(VALU_DEP_2) | instskip(NEXT) | instid1(VALU_DEP_2)
	v_fma_f64 v[146:147], v[152:153], v[142:143], v[146:147]
	v_fma_f64 v[148:149], v[150:151], v[142:143], -v[144:145]
	s_clause 0x1
	global_load_b128 v[150:153], v3, s[22:23] offset:176
	global_load_b128 v[170:173], v3, s[22:23] offset:160
	s_waitcnt vmcnt(1)
	v_mul_f64 v[142:143], v[154:155], v[152:153]
	v_mul_f64 v[144:145], v[156:157], v[152:153]
	s_delay_alu instid0(VALU_DEP_2) | instskip(NEXT) | instid1(VALU_DEP_2)
	v_fma_f64 v[142:143], v[156:157], v[150:151], v[142:143]
	v_fma_f64 v[144:145], v[154:155], v[150:151], -v[144:145]
	ds_load_b128 v[150:153], v2 offset:11424
	ds_load_b128 v[194:197], v2 offset:13328
	s_waitcnt lgkmcnt(1)
	v_mul_f64 v[154:155], v[150:151], v[166:167]
	s_waitcnt lgkmcnt(0)
	v_mul_f64 v[158:159], v[194:195], v[162:163]
	v_mul_f64 v[162:163], v[196:197], v[162:163]
	s_delay_alu instid0(VALU_DEP_3) | instskip(SKIP_1) | instid1(VALU_DEP_4)
	v_fma_f64 v[234:235], v[152:153], v[164:165], v[154:155]
	v_mul_f64 v[152:153], v[152:153], v[166:167]
	v_fma_f64 v[157:158], v[196:197], v[160:161], v[158:159]
	s_delay_alu instid0(VALU_DEP_2)
	v_fma_f64 v[232:233], v[150:151], v[164:165], -v[152:153]
	ds_load_b128 v[164:167], v2 offset:20944
	ds_load_b128 v[198:201], v2 offset:19040
	s_waitcnt vmcnt(0) lgkmcnt(1)
	v_mul_f64 v[150:151], v[164:165], v[172:173]
	v_mul_f64 v[152:153], v[166:167], v[172:173]
	s_delay_alu instid0(VALU_DEP_2) | instskip(NEXT) | instid1(VALU_DEP_2)
	v_fma_f64 v[150:151], v[166:167], v[170:171], v[150:151]
	v_fma_f64 v[152:153], v[164:165], v[170:171], -v[152:153]
	v_fma_f64 v[164:165], v[194:195], v[160:161], -v[162:163]
	s_clause 0x1
	global_load_b128 v[170:173], v3, s[22:23] offset:144
	global_load_b128 v[194:197], v3, s[22:23] offset:128
	v_mul_f64 v[2:3], v[65:66], v[23:24]
	s_waitcnt vmcnt(1) lgkmcnt(0)
	v_mul_f64 v[162:163], v[200:201], v[172:173]
	v_mul_f64 v[160:161], v[198:199], v[172:173]
	s_delay_alu instid0(VALU_DEP_2) | instskip(SKIP_2) | instid1(VALU_DEP_3)
	v_fma_f64 v[166:167], v[198:199], v[170:171], -v[162:163]
	s_waitcnt vmcnt(0)
	v_mul_f64 v[162:163], v[190:191], v[196:197]
	v_fma_f64 v[159:160], v[200:201], v[170:171], v[160:161]
	s_delay_alu instid0(VALU_DEP_2) | instskip(SKIP_1) | instid1(VALU_DEP_1)
	v_fma_f64 v[170:171], v[192:193], v[194:195], v[162:163]
	v_mul_f64 v[162:163], v[192:193], v[196:197]
	v_fma_f64 v[172:173], v[190:191], v[194:195], -v[162:163]
	v_mul_f64 v[162:163], v[59:60], v[15:16]
	v_mul_f64 v[15:16], v[85:86], v[15:16]
	s_delay_alu instid0(VALU_DEP_2) | instskip(NEXT) | instid1(VALU_DEP_2)
	v_fma_f64 v[218:219], v[13:14], v[85:86], -v[162:163]
	v_fma_f64 v[105:106], v[13:14], v[59:60], v[15:16]
	v_mul_f64 v[15:16], v[63:64], v[11:12]
	v_mul_f64 v[11:12], v[61:62], v[11:12]
	v_fma_f64 v[85:86], v[228:229], v[76:77], v[7:8]
	v_mul_f64 v[6:7], v[0:1], v[222:223]
	s_delay_alu instid0(VALU_DEP_4) | instskip(NEXT) | instid1(VALU_DEP_4)
	v_fma_f64 v[236:237], v[9:10], v[61:62], -v[15:16]
	v_fma_f64 v[59:60], v[9:10], v[63:64], v[11:12]
	v_mul_f64 v[9:10], v[67:68], v[23:24]
	v_fma_f64 v[24:25], v[21:22], v[67:68], v[2:3]
	v_mul_f64 v[2:3], v[72:73], v[19:20]
	v_mul_f64 v[15:16], v[83:84], v[248:249]
	v_add_f64 v[61:62], v[252:253], -v[124:125]
	v_add_f64 v[63:64], v[57:58], -v[111:112]
	v_add_f64 v[67:68], v[57:58], v[111:112]
	v_fma_f64 v[99:100], v[220:221], v[78:79], -v[6:7]
	v_add_f64 v[12:13], v[146:147], -v[142:143]
	v_add_f64 v[6:7], v[157:158], v[159:160]
	v_fma_f64 v[26:27], v[21:22], v[65:66], -v[9:10]
	v_mul_f64 v[9:10], v[76:77], v[230:231]
	v_fma_f64 v[81:82], v[17:18], v[70:71], -v[2:3]
	v_mul_f64 v[2:3], v[70:71], v[19:20]
	;; [unrolled: 2-line block ×3, first 2 shown]
	v_mul_f64 v[21:22], v[90:91], v[39:40]
	v_add_f64 v[65:66], v[252:253], v[124:125]
	v_add_f64 v[14:15], v[146:147], v[142:143]
	v_fma_f64 v[162:163], v[228:229], v[74:75], -v[9:10]
	v_mul_f64 v[8:9], v[78:79], v[222:223]
	v_fma_f64 v[28:29], v[17:18], v[72:73], v[2:3]
	v_mul_f64 v[17:18], v[240:241], v[226:227]
	v_fma_f64 v[190:191], v[224:225], v[240:241], -v[19:20]
	v_fma_f64 v[115:116], v[37:38], v[92:93], v[21:22]
	v_mul_f64 v[21:22], v[92:93], v[39:40]
	v_add_f64 v[10:11], v[234:235], v[150:151]
	v_add_f64 v[2:3], v[138:139], -v[170:171]
	v_fma_f64 v[97:98], v[220:221], v[0:1], v[8:9]
	v_mul_f64 v[8:9], v[30:31], v[248:249]
	v_mul_f64 v[30:31], v[94:95], v[35:36]
	v_fma_f64 v[109:110], v[224:225], v[88:89], v[17:18]
	v_add_f64 v[18:19], v[134:135], v[126:127]
	v_fma_f64 v[113:114], v[37:38], v[90:91], -v[21:22]
	v_add_f64 v[20:21], v[254:255], -v[122:123]
	v_add_f64 v[22:23], v[128:129], v[117:118]
	v_add_f64 v[16:17], v[134:135], -v[126:127]
	v_fma_f64 v[107:108], v[246:247], v[83:84], v[8:9]
	v_fma_f64 v[240:241], v[33:34], v[4:5], v[30:31]
	v_mul_f64 v[30:31], v[4:5], v[35:36]
	v_add_f64 v[8:9], v[234:235], -v[150:151]
	v_add_f64 v[4:5], v[157:158], -v[159:160]
	v_mul_f64 v[248:249], v[20:21], s[26:27]
	s_delay_alu instid0(VALU_DEP_4) | instskip(SKIP_2) | instid1(VALU_DEP_2)
	v_fma_f64 v[155:156], v[33:34], v[94:95], -v[30:31]
	v_mul_f64 v[30:31], v[238:239], v[47:48]
	v_add_f64 v[34:35], v[168:169], v[101:102]
	v_fma_f64 v[0:1], v[45:46], v[242:243], v[30:31]
	v_mul_f64 v[30:31], v[242:243], v[47:48]
	s_delay_alu instid0(VALU_DEP_3)
	v_mul_f64 v[242:243], v[34:35], s[16:17]
	scratch_store_b64 off, v[0:1], off offset:728 ; 8-byte Folded Spill
	v_fma_f64 v[0:1], v[45:46], v[238:239], -v[30:31]
	v_mul_f64 v[30:31], v[244:245], v[43:44]
	scratch_store_b64 off, v[0:1], off offset:720 ; 8-byte Folded Spill
	v_fma_f64 v[0:1], v[41:42], v[250:251], v[30:31]
	v_mul_f64 v[30:31], v[250:251], v[43:44]
	v_add_f64 v[43:44], v[168:169], -v[101:102]
	scratch_store_b64 off, v[0:1], off offset:600 ; 8-byte Folded Spill
	v_fma_f64 v[0:1], v[41:42], v[244:245], -v[30:31]
	v_mul_f64 v[30:31], v[202:203], v[176:177]
	v_add_f64 v[41:42], v[254:255], v[122:123]
	v_mul_f64 v[244:245], v[43:44], s[48:49]
	scratch_store_b64 off, v[0:1], off offset:592 ; 8-byte Folded Spill
	v_fma_f64 v[0:1], v[174:175], v[204:205], v[30:31]
	v_mul_f64 v[30:31], v[204:205], v[176:177]
	v_mul_f64 v[246:247], v[41:42], s[12:13]
	scratch_store_b64 off, v[0:1], off offset:520 ; 8-byte Folded Spill
	v_fma_f64 v[0:1], v[174:175], v[202:203], -v[30:31]
	v_mul_f64 v[30:31], v[206:207], v[180:181]
	scratch_store_b64 off, v[0:1], off offset:512 ; 8-byte Folded Spill
	v_fma_f64 v[0:1], v[178:179], v[208:209], v[30:31]
	v_mul_f64 v[30:31], v[208:209], v[180:181]
	scratch_store_b64 off, v[0:1], off offset:320 ; 8-byte Folded Spill
	v_fma_f64 v[0:1], v[178:179], v[206:207], -v[30:31]
	v_mul_f64 v[30:31], v[210:211], v[184:185]
	scratch_store_b64 off, v[0:1], off offset:304 ; 8-byte Folded Spill
	v_fma_f64 v[0:1], v[182:183], v[212:213], v[30:31]
	;; [unrolled: 6-line block ×3, first 2 shown]
	v_mul_f64 v[30:31], v[216:217], v[188:189]
	scratch_store_b64 off, v[0:1], off offset:132 ; 8-byte Folded Spill
	v_fma_f64 v[0:1], v[186:187], v[214:215], -v[30:31]
	s_clause 0x2
	scratch_store_b64 off, v[0:1], off offset:124
	scratch_store_b64 off, v[101:102], off offset:140
	;; [unrolled: 1-line block ×3, first 2 shown]
	v_mul_f64 v[0:1], v[34:35], s[6:7]
	s_clause 0x1
	scratch_store_b64 off, v[124:125], off offset:148
	scratch_store_b64 off, v[252:253], off offset:224
	v_mul_f64 v[252:253], v[16:17], s[46:47]
	v_mul_f64 v[101:102], v[43:44], s[26:27]
	scratch_store_b64 off, v[0:1], off offset:352 ; 8-byte Folded Spill
	v_fma_f64 v[30:31], v[61:62], s[52:53], v[0:1]
	v_mul_f64 v[0:1], v[41:42], s[16:17]
	s_clause 0x3
	scratch_store_b64 off, v[122:123], off offset:156
	scratch_store_b64 off, v[254:255], off offset:232
	;; [unrolled: 1-line block ×4, first 2 shown]
	v_add_f64 v[57:58], v[128:129], -v[117:118]
	v_mul_f64 v[254:255], v[18:19], s[28:29]
	v_mul_f64 v[123:124], v[10:11], s[24:25]
	;; [unrolled: 1-line block ×3, first 2 shown]
	v_add_f64 v[30:31], v[51:52], v[30:31]
	scratch_store_b64 off, v[0:1], off offset:368 ; 8-byte Folded Spill
	v_fma_f64 v[32:33], v[63:64], s[18:19], v[0:1]
	v_mul_f64 v[0:1], v[43:44], s[8:9]
	v_mul_f64 v[250:251], v[57:58], s[42:43]
	s_delay_alu instid0(VALU_DEP_3) | instskip(SKIP_3) | instid1(VALU_DEP_2)
	v_add_f64 v[30:31], v[32:33], v[30:31]
	scratch_store_b64 off, v[0:1], off offset:392 ; 8-byte Folded Spill
	v_fma_f64 v[32:33], v[65:66], s[6:7], v[0:1]
	v_mul_f64 v[0:1], v[20:21], s[48:49]
	v_add_f64 v[32:33], v[49:50], v[32:33]
	s_delay_alu instid0(VALU_DEP_2)
	v_fma_f64 v[69:70], v[67:68], s[16:17], v[0:1]
	scratch_store_b64 off, v[0:1], off offset:408 ; 8-byte Folded Spill
	v_mul_f64 v[0:1], v[22:23], s[34:35]
	s_clause 0x3
	scratch_store_b64 off, v[117:118], off offset:172
	scratch_store_b64 off, v[128:129], off offset:256
	;; [unrolled: 1-line block ×4, first 2 shown]
	v_mul_f64 v[117:118], v[4:5], s[54:55]
	v_add_f64 v[32:33], v[69:70], v[32:33]
	v_add_f64 v[69:70], v[132:133], -v[119:120]
	scratch_store_b64 off, v[0:1], off offset:424 ; 8-byte Folded Spill
	v_fma_f64 v[71:72], v[69:70], s[54:55], v[0:1]
	v_mul_f64 v[0:1], v[57:58], s[38:39]
	s_delay_alu instid0(VALU_DEP_2)
	v_add_f64 v[30:31], v[71:72], v[30:31]
	v_add_f64 v[71:72], v[132:133], v[119:120]
	s_clause 0x4
	scratch_store_b64 off, v[0:1], off offset:440
	scratch_store_b64 off, v[126:127], off offset:216
	scratch_store_b64 off, v[134:135], off offset:288
	scratch_store_b64 off, v[130:131], off offset:240
	scratch_store_b64 off, v[136:137], off offset:296
	v_mul_f64 v[125:126], v[14:15], s[10:11]
	v_mul_f64 v[119:120], v[6:7], s[34:35]
	v_fma_f64 v[73:74], v[71:72], s[34:35], v[0:1]
	v_mul_f64 v[0:1], v[18:19], s[12:13]
	s_delay_alu instid0(VALU_DEP_2) | instskip(SKIP_4) | instid1(VALU_DEP_2)
	v_add_f64 v[32:33], v[73:74], v[32:33]
	v_add_f64 v[73:74], v[136:137], -v[130:131]
	scratch_store_b64 off, v[0:1], off offset:456 ; 8-byte Folded Spill
	v_fma_f64 v[75:76], v[73:74], s[60:61], v[0:1]
	v_mul_f64 v[0:1], v[16:17], s[26:27]
	v_add_f64 v[30:31], v[75:76], v[30:31]
	v_add_f64 v[75:76], v[136:137], v[130:131]
	s_clause 0x4
	scratch_store_b64 off, v[0:1], off offset:488
	scratch_store_b64 off, v[142:143], off offset:272
	scratch_store_b64 off, v[146:147], off offset:328
	scratch_store_b64 off, v[144:145], off offset:280
	scratch_store_b64 off, v[148:149], off offset:344
	v_mul_f64 v[129:130], v[12:13], s[56:57]
	v_fma_f64 v[77:78], v[75:76], s[12:13], v[0:1]
	v_mul_f64 v[0:1], v[14:15], s[24:25]
	s_delay_alu instid0(VALU_DEP_2) | instskip(SKIP_4) | instid1(VALU_DEP_2)
	v_add_f64 v[32:33], v[77:78], v[32:33]
	v_add_f64 v[77:78], v[148:149], -v[144:145]
	scratch_store_b64 off, v[0:1], off offset:496 ; 8-byte Folded Spill
	v_fma_f64 v[79:80], v[77:78], s[40:41], v[0:1]
	v_mul_f64 v[0:1], v[12:13], s[50:51]
	v_add_f64 v[30:31], v[79:80], v[30:31]
	v_add_f64 v[79:80], v[148:149], v[144:145]
	s_clause 0x4
	scratch_store_b64 off, v[0:1], off offset:504
	scratch_store_b64 off, v[150:151], off offset:312
	scratch_store_b64 off, v[234:235], off offset:360
	scratch_store_b64 off, v[152:153], off offset:336
	scratch_store_b64 off, v[232:233], off offset:376
	v_mul_f64 v[145:146], v[22:23], s[36:37]
	v_fma_f64 v[83:84], v[79:80], s[24:25], v[0:1]
	v_mul_f64 v[0:1], v[10:11], s[36:37]
	s_delay_alu instid0(VALU_DEP_2) | instskip(SKIP_4) | instid1(VALU_DEP_2)
	v_add_f64 v[32:33], v[83:84], v[32:33]
	v_add_f64 v[83:84], v[232:233], -v[152:153]
	scratch_store_b64 off, v[0:1], off offset:528 ; 8-byte Folded Spill
	v_fma_f64 v[87:88], v[83:84], s[58:59], v[0:1]
	v_mul_f64 v[0:1], v[8:9], s[42:43]
	v_add_f64 v[30:31], v[87:88], v[30:31]
	v_add_f64 v[87:88], v[232:233], v[152:153]
	s_clause 0x4
	scratch_store_b64 off, v[0:1], off offset:536
	scratch_store_b64 off, v[157:158], off offset:416
	scratch_store_b64 off, v[159:160], off offset:384
	scratch_store_b64 off, v[164:165], off offset:432
	scratch_store_b64 off, v[166:167], off offset:400
	v_fma_f64 v[89:90], v[87:88], s[36:37], v[0:1]
	v_mul_f64 v[0:1], v[6:7], s[10:11]
	s_delay_alu instid0(VALU_DEP_2) | instskip(SKIP_4) | instid1(VALU_DEP_2)
	v_add_f64 v[32:33], v[89:90], v[32:33]
	v_add_f64 v[89:90], v[164:165], -v[166:167]
	scratch_store_b64 off, v[0:1], off offset:544 ; 8-byte Folded Spill
	v_fma_f64 v[91:92], v[89:90], s[56:57], v[0:1]
	v_mul_f64 v[0:1], v[4:5], s[30:31]
	v_add_f64 v[30:31], v[91:92], v[30:31]
	v_add_f64 v[91:92], v[164:165], v[166:167]
	s_clause 0x4
	scratch_store_b64 off, v[0:1], off offset:552
	scratch_store_b64 off, v[138:139], off offset:472
	;; [unrolled: 1-line block ×5, first 2 shown]
	v_fma_f64 v[93:94], v[91:92], s[10:11], v[0:1]
	v_mul_f64 v[0:1], v[2:3], s[46:47]
	s_delay_alu instid0(VALU_DEP_2) | instskip(SKIP_4) | instid1(VALU_DEP_2)
	v_add_f64 v[32:33], v[93:94], v[32:33]
	v_add_f64 v[93:94], v[140:141], v[172:173]
	scratch_store_b64 off, v[0:1], off offset:560 ; 8-byte Folded Spill
	v_fma_f64 v[95:96], v[93:94], s[28:29], v[0:1]
	v_add_f64 v[0:1], v[138:139], v[170:171]
	v_add_f64 v[32:33], v[95:96], v[32:33]
	v_add_f64 v[95:96], v[140:141], -v[172:173]
	s_delay_alu instid0(VALU_DEP_3) | instskip(NEXT) | instid1(VALU_DEP_1)
	v_mul_f64 v[36:37], v[0:1], s[28:29]
	v_fma_f64 v[111:112], v[95:96], s[44:45], v[36:37]
	scratch_store_b64 off, v[36:37], off offset:568 ; 8-byte Folded Spill
	v_add_f64 v[30:31], v[111:112], v[30:31]
	v_mul_f64 v[111:112], v[32:33], v[105:106]
	s_delay_alu instid0(VALU_DEP_2) | instskip(NEXT) | instid1(VALU_DEP_2)
	v_mul_f64 v[105:106], v[30:31], v[105:106]
	v_fma_f64 v[38:39], v[30:31], v[218:219], v[111:112]
	v_fma_f64 v[30:31], v[61:62], s[18:19], v[242:243]
	v_mul_f64 v[111:112], v[2:3], s[52:53]
	s_delay_alu instid0(VALU_DEP_4) | instskip(SKIP_1) | instid1(VALU_DEP_4)
	v_fma_f64 v[36:37], v[32:33], v[218:219], -v[105:106]
	v_fma_f64 v[32:33], v[63:64], s[60:61], v[246:247]
	v_add_f64 v[30:31], v[51:52], v[30:31]
	v_fma_f64 v[105:106], v[67:68], s[12:13], v[248:249]
	v_fma_f64 v[208:209], v[93:94], s[6:7], v[111:112]
	s_delay_alu instid0(VALU_DEP_3) | instskip(SKIP_1) | instid1(VALU_DEP_1)
	v_add_f64 v[30:31], v[32:33], v[30:31]
	v_fma_f64 v[32:33], v[65:66], s[16:17], v[244:245]
	v_add_f64 v[32:33], v[49:50], v[32:33]
	s_delay_alu instid0(VALU_DEP_1) | instskip(SKIP_1) | instid1(VALU_DEP_1)
	v_add_f64 v[32:33], v[105:106], v[32:33]
	v_fma_f64 v[105:106], v[69:70], s[58:59], v[145:146]
	v_add_f64 v[30:31], v[105:106], v[30:31]
	v_fma_f64 v[105:106], v[71:72], s[36:37], v[250:251]
	s_delay_alu instid0(VALU_DEP_1) | instskip(SKIP_1) | instid1(VALU_DEP_1)
	v_add_f64 v[32:33], v[105:106], v[32:33]
	v_fma_f64 v[105:106], v[73:74], s[44:45], v[254:255]
	v_add_f64 v[30:31], v[105:106], v[30:31]
	v_fma_f64 v[105:106], v[75:76], s[28:29], v[252:253]
	;; [unrolled: 5-line block ×5, first 2 shown]
	v_mul_f64 v[105:106], v[0:1], s[6:7]
	s_delay_alu instid0(VALU_DEP_2) | instskip(NEXT) | instid1(VALU_DEP_2)
	v_add_f64 v[30:31], v[30:31], v[32:33]
	v_fma_f64 v[210:211], v[95:96], s[8:9], v[105:106]
	s_delay_alu instid0(VALU_DEP_2) | instskip(NEXT) | instid1(VALU_DEP_2)
	v_add_f64 v[208:209], v[208:209], v[30:31]
	v_add_f64 v[206:207], v[210:211], v[206:207]
	s_delay_alu instid0(VALU_DEP_2) | instskip(NEXT) | instid1(VALU_DEP_2)
	v_mul_f64 v[210:211], v[208:209], v[59:60]
	v_mul_f64 v[59:60], v[206:207], v[59:60]
	s_delay_alu instid0(VALU_DEP_2) | instskip(NEXT) | instid1(VALU_DEP_2)
	v_fma_f64 v[32:33], v[206:207], v[236:237], v[210:211]
	v_fma_f64 v[30:31], v[208:209], v[236:237], -v[59:60]
	scratch_store_b128 off, v[36:39], off offset:4 ; 16-byte Folded Spill
	v_mul_f64 v[38:39], v[20:21], s[46:47]
	v_mul_f64 v[36:37], v[20:21], s[56:57]
	scratch_store_b128 off, v[30:33], off offset:20 ; 16-byte Folded Spill
	v_mul_f64 v[30:31], v[34:35], s[34:35]
	v_fma_f64 v[180:181], v[67:68], s[28:29], v[38:39]
	v_fma_f64 v[202:203], v[67:68], s[10:11], v[36:37]
	scratch_store_b64 off, v[30:31], off offset:584 ; 8-byte Folded Spill
	v_fma_f64 v[59:60], v[61:62], s[54:55], v[30:31]
	v_mul_f64 v[30:31], v[41:42], s[36:37]
	s_delay_alu instid0(VALU_DEP_2) | instskip(SKIP_3) | instid1(VALU_DEP_2)
	v_add_f64 v[59:60], v[51:52], v[59:60]
	scratch_store_b64 off, v[30:31], off offset:576 ; 8-byte Folded Spill
	v_fma_f64 v[210:211], v[63:64], s[58:59], v[30:31]
	v_mul_f64 v[30:31], v[43:44], s[38:39]
	v_add_f64 v[59:60], v[210:211], v[59:60]
	scratch_store_b64 off, v[30:31], off offset:624 ; 8-byte Folded Spill
	v_fma_f64 v[210:211], v[65:66], s[34:35], v[30:31]
	v_mul_f64 v[30:31], v[20:21], s[42:43]
	s_delay_alu instid0(VALU_DEP_2) | instskip(SKIP_3) | instid1(VALU_DEP_2)
	v_add_f64 v[212:213], v[49:50], v[210:211]
	scratch_store_b64 off, v[30:31], off offset:608 ; 8-byte Folded Spill
	v_fma_f64 v[216:217], v[67:68], s[36:37], v[30:31]
	v_mul_f64 v[30:31], v[22:23], s[28:29]
	v_add_f64 v[218:219], v[216:217], v[212:213]
	;; [unrolled: 9-line block ×7, first 2 shown]
	scratch_store_b64 off, v[30:31], off offset:696 ; 8-byte Folded Spill
	v_fma_f64 v[176:177], v[93:94], s[10:11], v[30:31]
	v_mul_f64 v[30:31], v[0:1], s[10:11]
	s_delay_alu instid0(VALU_DEP_2) | instskip(NEXT) | instid1(VALU_DEP_2)
	v_add_f64 v[176:177], v[176:177], v[236:237]
	v_fma_f64 v[178:179], v[95:96], s[56:57], v[30:31]
	scratch_store_b64 off, v[30:31], off offset:712 ; 8-byte Folded Spill
	v_add_f64 v[59:60], v[178:179], v[59:60]
	v_mul_f64 v[178:179], v[176:177], v[24:25]
	s_delay_alu instid0(VALU_DEP_2) | instskip(NEXT) | instid1(VALU_DEP_2)
	v_mul_f64 v[24:25], v[59:60], v[24:25]
	v_fma_f64 v[32:33], v[59:60], v[26:27], v[178:179]
	v_fma_f64 v[59:60], v[65:66], s[12:13], v[101:102]
	v_mul_f64 v[178:179], v[41:42], s[28:29]
	s_delay_alu instid0(VALU_DEP_4) | instskip(SKIP_1) | instid1(VALU_DEP_4)
	v_fma_f64 v[30:31], v[176:177], v[26:27], -v[24:25]
	v_mul_f64 v[176:177], v[34:35], s[12:13]
	v_add_f64 v[59:60], v[49:50], v[59:60]
	s_delay_alu instid0(VALU_DEP_4) | instskip(NEXT) | instid1(VALU_DEP_3)
	v_fma_f64 v[26:27], v[63:64], s[44:45], v[178:179]
	v_fma_f64 v[24:25], v[61:62], s[60:61], v[176:177]
	s_delay_alu instid0(VALU_DEP_3) | instskip(SKIP_1) | instid1(VALU_DEP_3)
	v_add_f64 v[59:60], v[180:181], v[59:60]
	v_mul_f64 v[180:181], v[22:23], s[24:25]
	v_add_f64 v[24:25], v[51:52], v[24:25]
	s_delay_alu instid0(VALU_DEP_2) | instskip(NEXT) | instid1(VALU_DEP_2)
	v_fma_f64 v[182:183], v[69:70], s[50:51], v[180:181]
	v_add_f64 v[24:25], v[26:27], v[24:25]
	s_delay_alu instid0(VALU_DEP_1) | instskip(SKIP_1) | instid1(VALU_DEP_1)
	v_add_f64 v[24:25], v[182:183], v[24:25]
	v_mul_f64 v[182:183], v[57:58], s[40:41]
	v_fma_f64 v[184:185], v[71:72], s[24:25], v[182:183]
	s_delay_alu instid0(VALU_DEP_1) | instskip(SKIP_1) | instid1(VALU_DEP_1)
	v_add_f64 v[59:60], v[184:185], v[59:60]
	v_mul_f64 v[184:185], v[18:19], s[6:7]
	v_fma_f64 v[186:187], v[73:74], s[8:9], v[184:185]
	;; [unrolled: 4-line block ×11, first 2 shown]
	s_delay_alu instid0(VALU_DEP_1) | instskip(NEXT) | instid1(VALU_DEP_4)
	v_add_f64 v[24:25], v[127:128], v[24:25]
	v_mul_f64 v[127:128], v[59:60], v[28:29]
	s_delay_alu instid0(VALU_DEP_2) | instskip(NEXT) | instid1(VALU_DEP_2)
	v_mul_f64 v[28:29], v[24:25], v[28:29]
	v_fma_f64 v[26:27], v[24:25], v[81:82], v[127:128]
	v_mul_f64 v[127:128], v[43:44], s[50:51]
	s_delay_alu instid0(VALU_DEP_3)
	v_fma_f64 v[24:25], v[59:60], v[81:82], -v[28:29]
	scratch_store_b128 off, v[30:33], off offset:36 ; 16-byte Folded Spill
	v_mul_f64 v[32:33], v[34:35], s[24:25]
	v_mul_f64 v[81:82], v[41:42], s[10:11]
	;; [unrolled: 1-line block ×3, first 2 shown]
	scratch_store_b128 off, v[24:27], off offset:52 ; 16-byte Folded Spill
	v_fma_f64 v[28:29], v[61:62], s[40:41], v[32:33]
	v_fma_f64 v[59:60], v[63:64], s[30:31], v[81:82]
	;; [unrolled: 1-line block ×3, first 2 shown]
	s_delay_alu instid0(VALU_DEP_3) | instskip(NEXT) | instid1(VALU_DEP_1)
	v_add_f64 v[28:29], v[51:52], v[28:29]
	v_add_f64 v[28:29], v[59:60], v[28:29]
	v_fma_f64 v[59:60], v[65:66], s[24:25], v[127:128]
	s_delay_alu instid0(VALU_DEP_1) | instskip(NEXT) | instid1(VALU_DEP_1)
	v_add_f64 v[59:60], v[49:50], v[59:60]
	v_add_f64 v[59:60], v[202:203], v[59:60]
	v_mul_f64 v[202:203], v[22:23], s[16:17]
	s_delay_alu instid0(VALU_DEP_1) | instskip(NEXT) | instid1(VALU_DEP_1)
	v_fma_f64 v[131:132], v[69:70], s[48:49], v[202:203]
	v_add_f64 v[28:29], v[131:132], v[28:29]
	v_mul_f64 v[131:132], v[57:58], s[18:19]
	s_delay_alu instid0(VALU_DEP_1) | instskip(NEXT) | instid1(VALU_DEP_1)
	v_fma_f64 v[204:205], v[71:72], s[16:17], v[131:132]
	;; [unrolled: 4-line block ×12, first 2 shown]
	v_add_f64 v[28:29], v[47:48], v[28:29]
	s_delay_alu instid0(VALU_DEP_4) | instskip(NEXT) | instid1(VALU_DEP_2)
	v_mul_f64 v[47:48], v[45:46], v[85:86]
	v_mul_f64 v[85:86], v[28:29], v[85:86]
	s_delay_alu instid0(VALU_DEP_2) | instskip(SKIP_2) | instid1(VALU_DEP_4)
	v_fma_f64 v[26:27], v[28:29], v[162:163], v[47:48]
	v_mul_f64 v[28:29], v[34:35], s[36:37]
	v_mul_f64 v[47:48], v[41:42], s[24:25]
	v_fma_f64 v[24:25], v[45:46], v[162:163], -v[85:86]
	s_delay_alu instid0(VALU_DEP_3) | instskip(NEXT) | instid1(VALU_DEP_3)
	v_fma_f64 v[45:46], v[61:62], s[58:59], v[28:29]
	v_fma_f64 v[85:86], v[63:64], s[50:51], v[47:48]
	scratch_store_b128 off, v[24:27], off offset:68 ; 16-byte Folded Spill
	v_add_f64 v[45:46], v[51:52], v[45:46]
	s_delay_alu instid0(VALU_DEP_1) | instskip(SKIP_1) | instid1(VALU_DEP_1)
	v_add_f64 v[45:46], v[85:86], v[45:46]
	v_mul_f64 v[85:86], v[43:44], s[42:43]
	v_fma_f64 v[162:163], v[65:66], s[36:37], v[85:86]
	s_delay_alu instid0(VALU_DEP_1) | instskip(NEXT) | instid1(VALU_DEP_1)
	v_add_f64 v[162:163], v[49:50], v[162:163]
	v_add_f64 v[162:163], v[210:211], v[162:163]
	v_mul_f64 v[210:211], v[22:23], s[6:7]
	s_delay_alu instid0(VALU_DEP_1) | instskip(NEXT) | instid1(VALU_DEP_1)
	v_fma_f64 v[147:148], v[69:70], s[52:53], v[210:211]
	v_add_f64 v[45:46], v[147:148], v[45:46]
	v_mul_f64 v[147:148], v[57:58], s[8:9]
	s_delay_alu instid0(VALU_DEP_1) | instskip(NEXT) | instid1(VALU_DEP_1)
	v_fma_f64 v[212:213], v[71:72], s[6:7], v[147:148]
	v_add_f64 v[162:163], v[212:213], v[162:163]
	v_mul_f64 v[212:213], v[18:19], s[10:11]
	s_delay_alu instid0(VALU_DEP_1) | instskip(NEXT) | instid1(VALU_DEP_1)
	v_fma_f64 v[214:215], v[73:74], s[56:57], v[212:213]
	v_add_f64 v[45:46], v[214:215], v[45:46]
	v_mul_f64 v[214:215], v[16:17], s[30:31]
	s_delay_alu instid0(VALU_DEP_1) | instskip(NEXT) | instid1(VALU_DEP_1)
	v_fma_f64 v[216:217], v[75:76], s[10:11], v[214:215]
	v_add_f64 v[162:163], v[216:217], v[162:163]
	v_mul_f64 v[216:217], v[14:15], s[12:13]
	s_delay_alu instid0(VALU_DEP_1) | instskip(NEXT) | instid1(VALU_DEP_1)
	v_fma_f64 v[218:219], v[77:78], s[26:27], v[216:217]
	v_add_f64 v[45:46], v[218:219], v[45:46]
	v_mul_f64 v[218:219], v[12:13], s[60:61]
	s_delay_alu instid0(VALU_DEP_1) | instskip(NEXT) | instid1(VALU_DEP_1)
	v_fma_f64 v[220:221], v[79:80], s[12:13], v[218:219]
	v_add_f64 v[162:163], v[220:221], v[162:163]
	v_mul_f64 v[220:221], v[10:11], s[16:17]
	s_delay_alu instid0(VALU_DEP_1) | instskip(NEXT) | instid1(VALU_DEP_1)
	v_fma_f64 v[149:150], v[83:84], s[18:19], v[220:221]
	v_add_f64 v[45:46], v[149:150], v[45:46]
	v_mul_f64 v[149:150], v[8:9], s[48:49]
	s_delay_alu instid0(VALU_DEP_1) | instskip(NEXT) | instid1(VALU_DEP_1)
	v_fma_f64 v[222:223], v[87:88], s[16:17], v[149:150]
	v_add_f64 v[162:163], v[222:223], v[162:163]
	v_mul_f64 v[222:223], v[6:7], s[28:29]
	s_delay_alu instid0(VALU_DEP_1) | instskip(NEXT) | instid1(VALU_DEP_1)
	v_fma_f64 v[151:152], v[89:90], s[44:45], v[222:223]
	v_add_f64 v[45:46], v[151:152], v[45:46]
	v_mul_f64 v[151:152], v[4:5], s[46:47]
	s_delay_alu instid0(VALU_DEP_1) | instskip(NEXT) | instid1(VALU_DEP_1)
	v_fma_f64 v[153:154], v[91:92], s[28:29], v[151:152]
	v_add_f64 v[153:154], v[153:154], v[162:163]
	v_mul_f64 v[162:163], v[2:3], s[54:55]
	s_delay_alu instid0(VALU_DEP_1) | instskip(NEXT) | instid1(VALU_DEP_1)
	v_fma_f64 v[224:225], v[93:94], s[34:35], v[162:163]
	v_add_f64 v[153:154], v[224:225], v[153:154]
	v_mul_f64 v[224:225], v[0:1], s[34:35]
	s_delay_alu instid0(VALU_DEP_1) | instskip(NEXT) | instid1(VALU_DEP_1)
	v_fma_f64 v[226:227], v[95:96], s[38:39], v[224:225]
	v_add_f64 v[45:46], v[226:227], v[45:46]
	s_delay_alu instid0(VALU_DEP_4) | instskip(NEXT) | instid1(VALU_DEP_2)
	v_mul_f64 v[226:227], v[153:154], v[97:98]
	v_mul_f64 v[97:98], v[45:46], v[97:98]
	s_delay_alu instid0(VALU_DEP_2)
	v_fma_f64 v[26:27], v[45:46], v[99:100], v[226:227]
	v_mul_f64 v[45:46], v[34:35], s[10:11]
	v_mul_f64 v[226:227], v[43:44], s[30:31]
	;; [unrolled: 1-line block ×3, first 2 shown]
	v_fma_f64 v[24:25], v[153:154], v[99:100], -v[97:98]
	v_mul_f64 v[153:154], v[41:42], s[34:35]
	v_fma_f64 v[97:98], v[61:62], s[56:57], v[45:46]
	v_mul_f64 v[40:41], v[41:42], s[6:7]
	v_mul_f64 v[42:43], v[43:44], s[46:47]
	scratch_store_b128 off, v[24:27], off offset:92 ; 16-byte Folded Spill
	v_fma_f64 v[99:100], v[63:64], s[38:39], v[153:154]
	v_add_f64 v[97:98], v[51:52], v[97:98]
	v_mul_f64 v[26:27], v[20:21], s[54:55]
	v_mul_f64 v[24:25], v[0:1], s[24:25]
	;; [unrolled: 1-line block ×3, first 2 shown]
	s_delay_alu instid0(VALU_DEP_4) | instskip(SKIP_2) | instid1(VALU_DEP_2)
	v_add_f64 v[97:98], v[99:100], v[97:98]
	v_fma_f64 v[99:100], v[65:66], s[10:11], v[226:227]
	v_fma_f64 v[228:229], v[67:68], s[34:35], v[26:27]
	v_add_f64 v[99:100], v[49:50], v[99:100]
	s_delay_alu instid0(VALU_DEP_1) | instskip(SKIP_1) | instid1(VALU_DEP_1)
	v_add_f64 v[99:100], v[228:229], v[99:100]
	v_mul_f64 v[228:229], v[22:23], s[12:13]
	v_fma_f64 v[230:231], v[69:70], s[60:61], v[228:229]
	s_delay_alu instid0(VALU_DEP_1) | instskip(SKIP_2) | instid1(VALU_DEP_2)
	v_add_f64 v[97:98], v[230:231], v[97:98]
	v_mul_f64 v[230:231], v[57:58], s[26:27]
	v_mul_f64 v[57:58], v[57:58], s[30:31]
	v_fma_f64 v[232:233], v[71:72], s[12:13], v[230:231]
	s_delay_alu instid0(VALU_DEP_1) | instskip(SKIP_2) | instid1(VALU_DEP_2)
	v_add_f64 v[99:100], v[232:233], v[99:100]
	v_mul_f64 v[232:233], v[18:19], s[36:37]
	;; [unrolled: 5-line block ×10, first 2 shown]
	v_mul_f64 v[2:3], v[2:3], s[60:61]
	v_fma_f64 v[238:239], v[93:94], s[24:25], v[172:173]
	s_delay_alu instid0(VALU_DEP_1) | instskip(SKIP_1) | instid1(VALU_DEP_1)
	v_add_f64 v[238:239], v[238:239], v[99:100]
	v_fma_f64 v[99:100], v[95:96], s[40:41], v[24:25]
	v_add_f64 v[97:98], v[99:100], v[97:98]
	s_delay_alu instid0(VALU_DEP_3) | instskip(NEXT) | instid1(VALU_DEP_2)
	v_mul_f64 v[99:100], v[238:239], v[107:108]
	v_mul_f64 v[107:108], v[97:98], v[107:108]
	s_delay_alu instid0(VALU_DEP_2) | instskip(NEXT) | instid1(VALU_DEP_2)
	v_fma_f64 v[99:100], v[97:98], v[103:104], v[99:100]
	v_fma_f64 v[97:98], v[238:239], v[103:104], -v[107:108]
	v_fma_f64 v[103:104], v[61:62], s[44:45], v[34:35]
	v_fma_f64 v[107:108], v[63:64], s[8:9], v[40:41]
	;; [unrolled: 1-line block ×4, first 2 shown]
	s_delay_alu instid0(VALU_DEP_4) | instskip(NEXT) | instid1(VALU_DEP_3)
	v_add_f64 v[103:104], v[51:52], v[103:104]
	v_add_f64 v[34:35], v[51:52], v[34:35]
	s_delay_alu instid0(VALU_DEP_2) | instskip(SKIP_2) | instid1(VALU_DEP_4)
	v_add_f64 v[103:104], v[107:108], v[103:104]
	v_mul_f64 v[107:108], v[20:21], s[52:53]
	v_fma_f64 v[20:21], v[65:66], s[28:29], v[42:43]
	v_add_f64 v[34:35], v[40:41], v[34:35]
	v_fma_f64 v[40:41], v[65:66], s[28:29], -v[42:43]
	s_delay_alu instid0(VALU_DEP_4) | instskip(NEXT) | instid1(VALU_DEP_4)
	v_fma_f64 v[238:239], v[67:68], s[6:7], v[107:108]
	v_add_f64 v[20:21], v[49:50], v[20:21]
	v_fma_f64 v[42:43], v[67:68], s[6:7], -v[107:108]
	s_delay_alu instid0(VALU_DEP_4) | instskip(NEXT) | instid1(VALU_DEP_3)
	v_add_f64 v[40:41], v[49:50], v[40:41]
	v_add_f64 v[20:21], v[238:239], v[20:21]
	v_mul_f64 v[238:239], v[22:23], s[10:11]
	s_delay_alu instid0(VALU_DEP_3) | instskip(NEXT) | instid1(VALU_DEP_2)
	v_add_f64 v[40:41], v[42:43], v[40:41]
	v_fma_f64 v[22:23], v[69:70], s[56:57], v[238:239]
	v_fma_f64 v[42:43], v[69:70], s[30:31], v[238:239]
	s_delay_alu instid0(VALU_DEP_2) | instskip(SKIP_1) | instid1(VALU_DEP_3)
	v_add_f64 v[22:23], v[22:23], v[103:104]
	v_fma_f64 v[103:104], v[71:72], s[10:11], v[57:58]
	v_add_f64 v[34:35], v[42:43], v[34:35]
	v_fma_f64 v[42:43], v[71:72], s[10:11], -v[57:58]
	s_delay_alu instid0(VALU_DEP_3) | instskip(SKIP_1) | instid1(VALU_DEP_3)
	v_add_f64 v[20:21], v[103:104], v[20:21]
	v_fma_f64 v[103:104], v[73:74], s[48:49], v[18:19]
	v_add_f64 v[40:41], v[42:43], v[40:41]
	v_fma_f64 v[18:19], v[73:74], s[18:19], v[18:19]
	s_delay_alu instid0(VALU_DEP_3) | instskip(SKIP_2) | instid1(VALU_DEP_4)
	v_add_f64 v[22:23], v[103:104], v[22:23]
	v_fma_f64 v[103:104], v[75:76], s[16:17], v[16:17]
	v_fma_f64 v[16:17], v[75:76], s[16:17], -v[16:17]
	v_add_f64 v[18:19], v[18:19], v[34:35]
	scratch_load_b64 v[34:35], off, off offset:608 ; 8-byte Folded Reload
	v_add_f64 v[20:21], v[103:104], v[20:21]
	v_fma_f64 v[103:104], v[77:78], s[58:59], v[14:15]
	v_add_f64 v[16:17], v[16:17], v[40:41]
	v_fma_f64 v[14:15], v[77:78], s[42:43], v[14:15]
	s_delay_alu instid0(VALU_DEP_3) | instskip(SKIP_2) | instid1(VALU_DEP_4)
	v_add_f64 v[22:23], v[103:104], v[22:23]
	v_fma_f64 v[103:104], v[79:80], s[36:37], v[12:13]
	v_fma_f64 v[12:13], v[79:80], s[36:37], -v[12:13]
	v_add_f64 v[14:15], v[14:15], v[18:19]
	s_delay_alu instid0(VALU_DEP_3) | instskip(SKIP_1) | instid1(VALU_DEP_4)
	v_add_f64 v[20:21], v[103:104], v[20:21]
	v_fma_f64 v[103:104], v[83:84], s[38:39], v[10:11]
	v_add_f64 v[12:13], v[12:13], v[16:17]
	v_fma_f64 v[10:11], v[83:84], s[54:55], v[10:11]
	s_delay_alu instid0(VALU_DEP_3) | instskip(SKIP_2) | instid1(VALU_DEP_4)
	v_add_f64 v[22:23], v[103:104], v[22:23]
	v_fma_f64 v[103:104], v[87:88], s[34:35], v[8:9]
	v_fma_f64 v[8:9], v[87:88], s[34:35], -v[8:9]
	v_add_f64 v[10:11], v[10:11], v[14:15]
	scratch_load_b64 v[14:15], off, off offset:180 ; 8-byte Folded Reload
	v_add_f64 v[20:21], v[103:104], v[20:21]
	v_fma_f64 v[103:104], v[89:90], s[40:41], v[6:7]
	v_add_f64 v[8:9], v[8:9], v[12:13]
	v_fma_f64 v[6:7], v[89:90], s[50:51], v[6:7]
	s_delay_alu instid0(VALU_DEP_3) | instskip(SKIP_2) | instid1(VALU_DEP_4)
	v_add_f64 v[22:23], v[103:104], v[22:23]
	v_fma_f64 v[103:104], v[91:92], s[24:25], v[4:5]
	v_fma_f64 v[4:5], v[91:92], s[24:25], -v[4:5]
	v_add_f64 v[6:7], v[6:7], v[10:11]
	scratch_load_b64 v[10:11], off, off offset:188 ; 8-byte Folded Reload
	v_add_f64 v[20:21], v[103:104], v[20:21]
	v_fma_f64 v[103:104], v[93:94], s[12:13], v[2:3]
	v_add_f64 v[4:5], v[4:5], v[8:9]
	v_fma_f64 v[2:3], v[93:94], s[12:13], -v[2:3]
	scratch_load_b64 v[8:9], off, off offset:720 ; 8-byte Folded Reload
	v_add_f64 v[20:21], v[103:104], v[20:21]
	v_fma_f64 v[103:104], v[95:96], s[26:27], v[0:1]
	v_add_f64 v[2:3], v[2:3], v[4:5]
	v_fma_f64 v[0:1], v[95:96], s[60:61], v[0:1]
	s_waitcnt vmcnt(3)
	v_fma_f64 v[34:35], v[67:68], s[36:37], -v[34:35]
	s_delay_alu instid0(VALU_DEP_4) | instskip(NEXT) | instid1(VALU_DEP_4)
	v_add_f64 v[22:23], v[103:104], v[22:23]
	v_mul_f64 v[4:5], v[2:3], v[115:116]
	s_delay_alu instid0(VALU_DEP_4) | instskip(SKIP_1) | instid1(VALU_DEP_4)
	v_add_f64 v[0:1], v[0:1], v[6:7]
	v_mul_f64 v[103:104], v[20:21], v[109:110]
	v_mul_f64 v[109:110], v[22:23], v[109:110]
	s_delay_alu instid0(VALU_DEP_3)
	v_mul_f64 v[6:7], v[0:1], v[115:116]
	v_fma_f64 v[18:19], v[0:1], v[113:114], v[4:5]
	v_fma_f64 v[0:1], v[61:62], s[30:31], v[45:46]
	v_fma_f64 v[4:5], v[67:68], s[34:35], -v[26:27]
	v_fma_f64 v[22:23], v[22:23], v[190:191], v[103:104]
	v_fma_f64 v[20:21], v[20:21], v[190:191], -v[109:110]
	v_fma_f64 v[16:17], v[2:3], v[113:114], -v[6:7]
	v_fma_f64 v[2:3], v[63:64], s[54:55], v[153:154]
	v_add_f64 v[0:1], v[51:52], v[0:1]
	s_delay_alu instid0(VALU_DEP_1) | instskip(SKIP_1) | instid1(VALU_DEP_1)
	v_add_f64 v[0:1], v[2:3], v[0:1]
	v_fma_f64 v[2:3], v[65:66], s[10:11], -v[226:227]
	v_add_f64 v[2:3], v[49:50], v[2:3]
	s_delay_alu instid0(VALU_DEP_1) | instskip(SKIP_1) | instid1(VALU_DEP_1)
	v_add_f64 v[2:3], v[4:5], v[2:3]
	v_fma_f64 v[4:5], v[69:70], s[26:27], v[228:229]
	v_add_f64 v[0:1], v[4:5], v[0:1]
	v_fma_f64 v[4:5], v[71:72], s[12:13], -v[230:231]
	s_delay_alu instid0(VALU_DEP_1) | instskip(SKIP_1) | instid1(VALU_DEP_1)
	v_add_f64 v[2:3], v[4:5], v[2:3]
	v_fma_f64 v[4:5], v[73:74], s[58:59], v[232:233]
	v_add_f64 v[0:1], v[4:5], v[0:1]
	v_fma_f64 v[4:5], v[75:76], s[36:37], -v[234:235]
	;; [unrolled: 5-line block ×5, first 2 shown]
	s_delay_alu instid0(VALU_DEP_1) | instskip(SKIP_1) | instid1(VALU_DEP_1)
	v_add_f64 v[2:3], v[4:5], v[2:3]
	v_fma_f64 v[4:5], v[93:94], s[24:25], -v[172:173]
	v_add_f64 v[2:3], v[4:5], v[2:3]
	v_fma_f64 v[4:5], v[95:96], s[50:51], v[24:25]
	s_delay_alu instid0(VALU_DEP_1) | instskip(NEXT) | instid1(VALU_DEP_3)
	v_add_f64 v[0:1], v[4:5], v[0:1]
	v_mul_f64 v[4:5], v[2:3], v[240:241]
	s_delay_alu instid0(VALU_DEP_2) | instskip(NEXT) | instid1(VALU_DEP_2)
	v_mul_f64 v[6:7], v[0:1], v[240:241]
	v_fma_f64 v[26:27], v[0:1], v[155:156], v[4:5]
	v_fma_f64 v[0:1], v[61:62], s[42:43], v[28:29]
	v_fma_f64 v[4:5], v[67:68], s[24:25], -v[30:31]
	scratch_load_b64 v[30:31], off, off offset:132 ; 8-byte Folded Reload
	v_fma_f64 v[24:25], v[2:3], v[155:156], -v[6:7]
	v_fma_f64 v[2:3], v[63:64], s[40:41], v[47:48]
	v_add_f64 v[0:1], v[51:52], v[0:1]
	scratch_load_b64 v[6:7], off, off offset:728 ; 8-byte Folded Reload
	v_add_f64 v[0:1], v[2:3], v[0:1]
	v_fma_f64 v[2:3], v[69:70], s[8:9], v[210:211]
	s_delay_alu instid0(VALU_DEP_1) | instskip(SKIP_1) | instid1(VALU_DEP_1)
	v_add_f64 v[0:1], v[2:3], v[0:1]
	v_fma_f64 v[2:3], v[73:74], s[30:31], v[212:213]
	v_add_f64 v[0:1], v[2:3], v[0:1]
	v_fma_f64 v[2:3], v[77:78], s[60:61], v[216:217]
	s_delay_alu instid0(VALU_DEP_1) | instskip(SKIP_1) | instid1(VALU_DEP_1)
	v_add_f64 v[0:1], v[2:3], v[0:1]
	v_fma_f64 v[2:3], v[83:84], s[48:49], v[220:221]
	v_add_f64 v[0:1], v[2:3], v[0:1]
	v_fma_f64 v[2:3], v[89:90], s[46:47], v[222:223]
	s_delay_alu instid0(VALU_DEP_1) | instskip(SKIP_1) | instid1(VALU_DEP_1)
	v_add_f64 v[0:1], v[2:3], v[0:1]
	v_fma_f64 v[2:3], v[65:66], s[36:37], -v[85:86]
	v_add_f64 v[2:3], v[49:50], v[2:3]
	s_delay_alu instid0(VALU_DEP_1) | instskip(SKIP_1) | instid1(VALU_DEP_1)
	v_add_f64 v[2:3], v[4:5], v[2:3]
	v_fma_f64 v[4:5], v[71:72], s[6:7], -v[147:148]
	v_add_f64 v[2:3], v[4:5], v[2:3]
	v_fma_f64 v[4:5], v[75:76], s[10:11], -v[214:215]
	s_delay_alu instid0(VALU_DEP_1) | instskip(SKIP_1) | instid1(VALU_DEP_1)
	v_add_f64 v[2:3], v[4:5], v[2:3]
	v_fma_f64 v[4:5], v[79:80], s[12:13], -v[218:219]
	v_add_f64 v[2:3], v[4:5], v[2:3]
	v_fma_f64 v[4:5], v[87:88], s[16:17], -v[149:150]
	;; [unrolled: 5-line block ×3, first 2 shown]
	s_delay_alu instid0(VALU_DEP_1) | instskip(SKIP_1) | instid1(VALU_DEP_1)
	v_add_f64 v[2:3], v[4:5], v[2:3]
	v_fma_f64 v[4:5], v[95:96], s[54:55], v[224:225]
	v_add_f64 v[0:1], v[4:5], v[0:1]
	s_waitcnt vmcnt(0)
	s_delay_alu instid0(VALU_DEP_3) | instskip(NEXT) | instid1(VALU_DEP_2)
	v_mul_f64 v[4:5], v[2:3], v[6:7]
	v_mul_f64 v[6:7], v[0:1], v[6:7]
	s_delay_alu instid0(VALU_DEP_2)
	v_fma_f64 v[43:44], v[0:1], v[8:9], v[4:5]
	v_fma_f64 v[0:1], v[61:62], s[50:51], v[32:33]
	v_fma_f64 v[4:5], v[67:68], s[10:11], -v[36:37]
	s_clause 0x1
	scratch_load_b64 v[32:33], off, off offset:124
	scratch_load_b64 v[36:37], off, off offset:672
	v_fma_f64 v[41:42], v[2:3], v[8:9], -v[6:7]
	v_fma_f64 v[2:3], v[63:64], s[56:57], v[81:82]
	v_add_f64 v[0:1], v[51:52], v[0:1]
	s_clause 0x1
	scratch_load_b64 v[6:7], off, off offset:600
	scratch_load_b64 v[8:9], off, off offset:592
	v_add_f64 v[0:1], v[2:3], v[0:1]
	v_fma_f64 v[2:3], v[69:70], s[18:19], v[202:203]
	s_delay_alu instid0(VALU_DEP_1) | instskip(SKIP_1) | instid1(VALU_DEP_1)
	v_add_f64 v[0:1], v[2:3], v[0:1]
	v_fma_f64 v[2:3], v[73:74], s[38:39], v[204:205]
	v_add_f64 v[0:1], v[2:3], v[0:1]
	v_fma_f64 v[2:3], v[77:78], s[46:47], v[135:136]
	s_delay_alu instid0(VALU_DEP_1) | instskip(SKIP_1) | instid1(VALU_DEP_1)
	v_add_f64 v[0:1], v[2:3], v[0:1]
	v_fma_f64 v[2:3], v[83:84], s[60:61], v[139:140]
	v_add_f64 v[0:1], v[2:3], v[0:1]
	v_fma_f64 v[2:3], v[89:90], s[8:9], v[143:144]
	s_delay_alu instid0(VALU_DEP_1) | instskip(SKIP_1) | instid1(VALU_DEP_1)
	v_add_f64 v[0:1], v[2:3], v[0:1]
	v_fma_f64 v[2:3], v[65:66], s[24:25], -v[127:128]
	v_add_f64 v[2:3], v[49:50], v[2:3]
	s_waitcnt vmcnt(2)
	v_fma_f64 v[36:37], v[83:84], s[8:9], v[36:37]
	s_delay_alu instid0(VALU_DEP_2) | instskip(SKIP_1) | instid1(VALU_DEP_1)
	v_add_f64 v[2:3], v[4:5], v[2:3]
	v_fma_f64 v[4:5], v[71:72], s[16:17], -v[131:132]
	v_add_f64 v[2:3], v[4:5], v[2:3]
	v_fma_f64 v[4:5], v[75:76], s[34:35], -v[133:134]
	s_delay_alu instid0(VALU_DEP_1) | instskip(SKIP_1) | instid1(VALU_DEP_1)
	v_add_f64 v[2:3], v[4:5], v[2:3]
	v_fma_f64 v[4:5], v[79:80], s[28:29], -v[137:138]
	v_add_f64 v[2:3], v[4:5], v[2:3]
	v_fma_f64 v[4:5], v[87:88], s[12:13], -v[141:142]
	s_delay_alu instid0(VALU_DEP_1) | instskip(SKIP_1) | instid1(VALU_DEP_1)
	;; [unrolled: 5-line block ×3, first 2 shown]
	v_add_f64 v[2:3], v[4:5], v[2:3]
	v_fma_f64 v[4:5], v[95:96], s[42:43], v[59:60]
	v_add_f64 v[0:1], v[4:5], v[0:1]
	s_waitcnt vmcnt(1)
	s_delay_alu instid0(VALU_DEP_3) | instskip(NEXT) | instid1(VALU_DEP_2)
	v_mul_f64 v[4:5], v[2:3], v[6:7]
	v_mul_f64 v[6:7], v[0:1], v[6:7]
	s_waitcnt vmcnt(0)
	s_delay_alu instid0(VALU_DEP_2)
	v_fma_f64 v[47:48], v[0:1], v[8:9], v[4:5]
	v_fma_f64 v[0:1], v[61:62], s[26:27], v[176:177]
	v_fma_f64 v[4:5], v[67:68], s[28:29], -v[38:39]
	scratch_load_b64 v[38:39], off, off offset:688 ; 8-byte Folded Reload
	v_fma_f64 v[45:46], v[2:3], v[8:9], -v[6:7]
	v_fma_f64 v[2:3], v[63:64], s[46:47], v[178:179]
	v_add_f64 v[0:1], v[51:52], v[0:1]
	s_clause 0x1
	scratch_load_b64 v[6:7], off, off offset:520
	scratch_load_b64 v[8:9], off, off offset:512
	v_add_f64 v[0:1], v[2:3], v[0:1]
	v_fma_f64 v[2:3], v[69:70], s[40:41], v[180:181]
	s_delay_alu instid0(VALU_DEP_1) | instskip(SKIP_1) | instid1(VALU_DEP_1)
	v_add_f64 v[0:1], v[2:3], v[0:1]
	v_fma_f64 v[2:3], v[73:74], s[52:53], v[184:185]
	v_add_f64 v[0:1], v[2:3], v[0:1]
	v_fma_f64 v[2:3], v[77:78], s[38:39], v[188:189]
	s_delay_alu instid0(VALU_DEP_1) | instskip(SKIP_1) | instid1(VALU_DEP_1)
	v_add_f64 v[0:1], v[2:3], v[0:1]
	v_fma_f64 v[2:3], v[83:84], s[30:31], v[192:193]
	v_add_f64 v[0:1], v[2:3], v[0:1]
	v_fma_f64 v[2:3], v[65:66], s[12:13], -v[101:102]
	s_delay_alu instid0(VALU_DEP_1) | instskip(NEXT) | instid1(VALU_DEP_1)
	v_add_f64 v[2:3], v[49:50], v[2:3]
	v_add_f64 v[2:3], v[4:5], v[2:3]
	v_fma_f64 v[4:5], v[71:72], s[24:25], -v[182:183]
	s_waitcnt vmcnt(2)
	v_fma_f64 v[38:39], v[87:88], s[6:7], -v[38:39]
	s_delay_alu instid0(VALU_DEP_2) | instskip(SKIP_1) | instid1(VALU_DEP_1)
	v_add_f64 v[2:3], v[4:5], v[2:3]
	v_fma_f64 v[4:5], v[75:76], s[6:7], -v[186:187]
	v_add_f64 v[2:3], v[4:5], v[2:3]
	v_fma_f64 v[4:5], v[79:80], s[34:35], -v[174:175]
	s_delay_alu instid0(VALU_DEP_1) | instskip(SKIP_1) | instid1(VALU_DEP_1)
	v_add_f64 v[2:3], v[4:5], v[2:3]
	v_fma_f64 v[4:5], v[87:88], s[10:11], -v[194:195]
	v_add_f64 v[2:3], v[4:5], v[2:3]
	v_fma_f64 v[4:5], v[89:90], s[58:59], v[196:197]
	s_delay_alu instid0(VALU_DEP_1) | instskip(SKIP_1) | instid1(VALU_DEP_1)
	v_add_f64 v[0:1], v[4:5], v[0:1]
	v_fma_f64 v[4:5], v[91:92], s[36:37], -v[198:199]
	v_add_f64 v[2:3], v[4:5], v[2:3]
	v_fma_f64 v[4:5], v[93:94], s[16:17], -v[200:201]
	s_delay_alu instid0(VALU_DEP_1) | instskip(SKIP_1) | instid1(VALU_DEP_1)
	v_add_f64 v[2:3], v[4:5], v[2:3]
	v_fma_f64 v[4:5], v[95:96], s[18:19], v[168:169]
	v_add_f64 v[0:1], v[4:5], v[0:1]
	s_waitcnt vmcnt(1)
	s_delay_alu instid0(VALU_DEP_3) | instskip(NEXT) | instid1(VALU_DEP_2)
	v_mul_f64 v[4:5], v[2:3], v[6:7]
	v_mul_f64 v[6:7], v[0:1], v[6:7]
	s_waitcnt vmcnt(0)
	s_delay_alu instid0(VALU_DEP_2)
	v_fma_f64 v[194:195], v[0:1], v[8:9], v[4:5]
	scratch_load_b64 v[4:5], off, off offset:116 ; 8-byte Folded Reload
	v_fma_f64 v[192:193], v[2:3], v[8:9], -v[6:7]
	s_clause 0x2
	scratch_load_b64 v[2:3], off, off offset:108
	scratch_load_b64 v[6:7], off, off offset:320
	;; [unrolled: 1-line block ×3, first 2 shown]
	s_waitcnt vmcnt(2)
	v_mul_f64 v[0:1], v[2:3], v[55:56]
	s_delay_alu instid0(VALU_DEP_1) | instskip(SKIP_2) | instid1(VALU_DEP_2)
	v_fma_f64 v[12:13], v[53:54], v[4:5], v[0:1]
	v_mul_f64 v[0:1], v[4:5], v[55:56]
	v_fma_f64 v[4:5], v[67:68], s[12:13], -v[248:249]
	v_fma_f64 v[28:29], v[53:54], v[2:3], -v[0:1]
	v_fma_f64 v[0:1], v[61:62], s[48:49], v[242:243]
	v_fma_f64 v[2:3], v[63:64], s[26:27], v[246:247]
	s_delay_alu instid0(VALU_DEP_2) | instskip(NEXT) | instid1(VALU_DEP_1)
	v_add_f64 v[0:1], v[51:52], v[0:1]
	v_add_f64 v[0:1], v[2:3], v[0:1]
	v_fma_f64 v[2:3], v[69:70], s[42:43], v[145:146]
	s_delay_alu instid0(VALU_DEP_1) | instskip(SKIP_1) | instid1(VALU_DEP_1)
	v_add_f64 v[0:1], v[2:3], v[0:1]
	v_fma_f64 v[2:3], v[65:66], s[16:17], -v[244:245]
	v_add_f64 v[2:3], v[49:50], v[2:3]
	s_delay_alu instid0(VALU_DEP_1) | instskip(SKIP_1) | instid1(VALU_DEP_1)
	v_add_f64 v[2:3], v[4:5], v[2:3]
	v_fma_f64 v[4:5], v[73:74], s[46:47], v[254:255]
	v_add_f64 v[0:1], v[4:5], v[0:1]
	v_fma_f64 v[4:5], v[71:72], s[36:37], -v[250:251]
	s_delay_alu instid0(VALU_DEP_1) | instskip(SKIP_1) | instid1(VALU_DEP_1)
	v_add_f64 v[2:3], v[4:5], v[2:3]
	v_fma_f64 v[4:5], v[77:78], s[56:57], v[125:126]
	v_add_f64 v[0:1], v[4:5], v[0:1]
	v_fma_f64 v[4:5], v[75:76], s[28:29], -v[252:253]
	s_delay_alu instid0(VALU_DEP_1) | instskip(SKIP_1) | instid1(VALU_DEP_1)
	v_add_f64 v[2:3], v[4:5], v[2:3]
	v_fma_f64 v[4:5], v[79:80], s[10:11], -v[129:130]
	v_add_f64 v[2:3], v[4:5], v[2:3]
	v_fma_f64 v[4:5], v[83:84], s[40:41], v[123:124]
	s_delay_alu instid0(VALU_DEP_1) | instskip(SKIP_1) | instid1(VALU_DEP_1)
	v_add_f64 v[0:1], v[4:5], v[0:1]
	v_fma_f64 v[4:5], v[87:88], s[24:25], -v[121:122]
	v_add_f64 v[2:3], v[4:5], v[2:3]
	v_fma_f64 v[4:5], v[89:90], s[54:55], v[119:120]
	s_delay_alu instid0(VALU_DEP_1) | instskip(SKIP_1) | instid1(VALU_DEP_1)
	v_add_f64 v[0:1], v[4:5], v[0:1]
	v_fma_f64 v[4:5], v[91:92], s[34:35], -v[117:118]
	v_add_f64 v[2:3], v[4:5], v[2:3]
	v_fma_f64 v[4:5], v[93:94], s[6:7], -v[111:112]
	s_delay_alu instid0(VALU_DEP_1) | instskip(SKIP_1) | instid1(VALU_DEP_1)
	v_add_f64 v[4:5], v[4:5], v[2:3]
	v_fma_f64 v[2:3], v[95:96], s[52:53], v[105:106]
	v_add_f64 v[0:1], v[2:3], v[0:1]
	s_waitcnt vmcnt(1)
	s_delay_alu instid0(VALU_DEP_3) | instskip(NEXT) | instid1(VALU_DEP_2)
	v_mul_f64 v[2:3], v[4:5], v[6:7]
	v_mul_f64 v[6:7], v[0:1], v[6:7]
	s_waitcnt vmcnt(0)
	s_delay_alu instid0(VALU_DEP_2) | instskip(NEXT) | instid1(VALU_DEP_2)
	v_fma_f64 v[2:3], v[0:1], v[8:9], v[2:3]
	v_fma_f64 v[0:1], v[4:5], v[8:9], -v[6:7]
	s_clause 0x2
	scratch_load_b64 v[4:5], off, off offset:352
	scratch_load_b64 v[6:7], off, off offset:368
	;; [unrolled: 1-line block ×3, first 2 shown]
	s_waitcnt vmcnt(2)
	v_fma_f64 v[4:5], v[61:62], s[8:9], v[4:5]
	s_waitcnt vmcnt(1)
	v_fma_f64 v[6:7], v[63:64], s[48:49], v[6:7]
	s_waitcnt vmcnt(0)
	v_fma_f64 v[8:9], v[67:68], s[16:17], -v[8:9]
	s_delay_alu instid0(VALU_DEP_3) | instskip(NEXT) | instid1(VALU_DEP_1)
	v_add_f64 v[4:5], v[51:52], v[4:5]
	v_add_f64 v[4:5], v[6:7], v[4:5]
	scratch_load_b64 v[6:7], off, off offset:392 ; 8-byte Folded Reload
	s_waitcnt vmcnt(0)
	v_fma_f64 v[6:7], v[65:66], s[6:7], -v[6:7]
	s_delay_alu instid0(VALU_DEP_1) | instskip(NEXT) | instid1(VALU_DEP_1)
	v_add_f64 v[6:7], v[49:50], v[6:7]
	v_add_f64 v[6:7], v[8:9], v[6:7]
	scratch_load_b64 v[8:9], off, off offset:424 ; 8-byte Folded Reload
	s_waitcnt vmcnt(0)
	v_fma_f64 v[8:9], v[69:70], s[38:39], v[8:9]
	s_delay_alu instid0(VALU_DEP_1) | instskip(SKIP_3) | instid1(VALU_DEP_1)
	v_add_f64 v[4:5], v[8:9], v[4:5]
	scratch_load_b64 v[8:9], off, off offset:440 ; 8-byte Folded Reload
	s_waitcnt vmcnt(0)
	v_fma_f64 v[8:9], v[71:72], s[34:35], -v[8:9]
	v_add_f64 v[6:7], v[8:9], v[6:7]
	scratch_load_b64 v[8:9], off, off offset:456 ; 8-byte Folded Reload
	s_waitcnt vmcnt(0)
	v_fma_f64 v[8:9], v[73:74], s[26:27], v[8:9]
	s_delay_alu instid0(VALU_DEP_1) | instskip(SKIP_3) | instid1(VALU_DEP_1)
	v_add_f64 v[4:5], v[8:9], v[4:5]
	scratch_load_b64 v[8:9], off, off offset:488 ; 8-byte Folded Reload
	s_waitcnt vmcnt(0)
	v_fma_f64 v[8:9], v[75:76], s[12:13], -v[8:9]
	;; [unrolled: 9-line block ×5, first 2 shown]
	v_add_f64 v[6:7], v[8:9], v[6:7]
	scratch_load_b64 v[8:9], off, off offset:560 ; 8-byte Folded Reload
	s_waitcnt vmcnt(0)
	v_fma_f64 v[8:9], v[93:94], s[28:29], -v[8:9]
	s_delay_alu instid0(VALU_DEP_1) | instskip(SKIP_3) | instid1(VALU_DEP_1)
	v_add_f64 v[8:9], v[8:9], v[6:7]
	scratch_load_b64 v[6:7], off, off offset:568 ; 8-byte Folded Reload
	s_waitcnt vmcnt(0)
	v_fma_f64 v[6:7], v[95:96], s[46:47], v[6:7]
	v_add_f64 v[4:5], v[6:7], v[4:5]
	v_mul_f64 v[6:7], v[8:9], v[10:11]
	s_delay_alu instid0(VALU_DEP_2) | instskip(NEXT) | instid1(VALU_DEP_2)
	v_mul_f64 v[10:11], v[4:5], v[10:11]
	v_fma_f64 v[6:7], v[4:5], v[14:15], v[6:7]
	s_delay_alu instid0(VALU_DEP_2)
	v_fma_f64 v[4:5], v[8:9], v[14:15], -v[10:11]
	s_clause 0x2
	scratch_load_b64 v[8:9], off, off offset:224
	scratch_load_b64 v[10:11], off, off offset:248
	scratch_load_b64 v[14:15], off, off offset:232
	s_waitcnt vmcnt(2)
	v_add_f64 v[8:9], v[49:50], v[8:9]
	s_waitcnt vmcnt(1)
	s_delay_alu instid0(VALU_DEP_1) | instskip(SKIP_3) | instid1(VALU_DEP_1)
	v_add_f64 v[8:9], v[8:9], v[10:11]
	scratch_load_b64 v[10:11], off, off offset:204 ; 8-byte Folded Reload
	s_waitcnt vmcnt(0)
	v_add_f64 v[10:11], v[51:52], v[10:11]
	v_add_f64 v[10:11], v[10:11], v[14:15]
	scratch_load_b64 v[14:15], off, off offset:264 ; 8-byte Folded Reload
	s_waitcnt vmcnt(0)
	v_add_f64 v[8:9], v[8:9], v[14:15]
	scratch_load_b64 v[14:15], off, off offset:256 ; 8-byte Folded Reload
	s_waitcnt vmcnt(0)
	;; [unrolled: 3-line block ×28, first 2 shown]
	v_add_f64 v[10:11], v[10:11], v[14:15]
	v_mul_f64 v[14:15], v[8:9], v[30:31]
	s_delay_alu instid0(VALU_DEP_2) | instskip(NEXT) | instid1(VALU_DEP_2)
	v_mul_f64 v[30:31], v[10:11], v[30:31]
	v_fma_f64 v[10:11], v[10:11], v[32:33], v[14:15]
	scratch_load_b64 v[14:15], off, off offset:584 ; 8-byte Folded Reload
	v_fma_f64 v[8:9], v[8:9], v[32:33], -v[30:31]
	s_clause 0x1
	scratch_load_b64 v[30:31], off, off offset:624
	scratch_load_b64 v[32:33], off, off offset:576
	s_waitcnt vmcnt(2)
	v_fma_f64 v[14:15], v[61:62], s[38:39], v[14:15]
	s_waitcnt vmcnt(1)
	v_fma_f64 v[30:31], v[65:66], s[34:35], -v[30:31]
	s_delay_alu instid0(VALU_DEP_2) | instskip(SKIP_2) | instid1(VALU_DEP_3)
	v_add_f64 v[14:15], v[51:52], v[14:15]
	s_waitcnt vmcnt(0)
	v_fma_f64 v[32:33], v[63:64], s[42:43], v[32:33]
	v_add_f64 v[30:31], v[49:50], v[30:31]
	s_delay_alu instid0(VALU_DEP_2)
	v_add_f64 v[14:15], v[32:33], v[14:15]
	scratch_load_b64 v[32:33], off, off offset:616 ; 8-byte Folded Reload
	v_add_f64 v[30:31], v[34:35], v[30:31]
	scratch_load_b64 v[34:35], off, off offset:632 ; 8-byte Folded Reload
	s_waitcnt vmcnt(1)
	v_fma_f64 v[32:33], v[69:70], s[44:45], v[32:33]
	s_waitcnt vmcnt(0)
	v_fma_f64 v[34:35], v[71:72], s[28:29], -v[34:35]
	s_delay_alu instid0(VALU_DEP_2)
	v_add_f64 v[14:15], v[32:33], v[14:15]
	scratch_load_b64 v[32:33], off, off offset:648 ; 8-byte Folded Reload
	v_add_f64 v[30:31], v[34:35], v[30:31]
	scratch_load_b64 v[34:35], off, off offset:656 ; 8-byte Folded Reload
	s_waitcnt vmcnt(0)
	v_fma_f64 v[34:35], v[75:76], s[24:25], -v[34:35]
	s_delay_alu instid0(VALU_DEP_1) | instskip(SKIP_2) | instid1(VALU_DEP_1)
	v_add_f64 v[30:31], v[34:35], v[30:31]
	scratch_load_b64 v[34:35], off, off offset:640 ; 8-byte Folded Reload
	v_fma_f64 v[32:33], v[73:74], s[40:41], v[32:33]
	v_add_f64 v[14:15], v[32:33], v[14:15]
	scratch_load_b64 v[32:33], off, off offset:664 ; 8-byte Folded Reload
	s_waitcnt vmcnt(1)
	v_fma_f64 v[34:35], v[77:78], s[18:19], v[34:35]
	s_delay_alu instid0(VALU_DEP_1)
	v_add_f64 v[14:15], v[34:35], v[14:15]
	scratch_load_b64 v[34:35], off, off offset:704 ; 8-byte Folded Reload
	s_waitcnt vmcnt(1)
	v_fma_f64 v[32:33], v[79:80], s[16:17], -v[32:33]
	v_add_f64 v[14:15], v[36:37], v[14:15]
	scratch_load_b64 v[36:37], off, off offset:712 ; 8-byte Folded Reload
	v_add_f64 v[30:31], v[32:33], v[30:31]
	scratch_load_b64 v[32:33], off, off offset:680 ; 8-byte Folded Reload
	;; [unrolled: 2-line block ×3, first 2 shown]
	s_waitcnt vmcnt(3)
	v_fma_f64 v[34:35], v[91:92], s[12:13], -v[34:35]
	s_delay_alu instid0(VALU_DEP_1)
	v_add_f64 v[30:31], v[34:35], v[30:31]
	s_waitcnt vmcnt(2)
	v_fma_f64 v[36:37], v[95:96], s[30:31], v[36:37]
	s_waitcnt vmcnt(1)
	v_fma_f64 v[32:33], v[89:90], s[26:27], v[32:33]
	s_waitcnt vmcnt(0)
	v_fma_f64 v[38:39], v[93:94], s[10:11], -v[38:39]
	s_delay_alu instid0(VALU_DEP_2) | instskip(NEXT) | instid1(VALU_DEP_2)
	v_add_f64 v[14:15], v[32:33], v[14:15]
	v_add_f64 v[30:31], v[38:39], v[30:31]
	s_delay_alu instid0(VALU_DEP_2) | instskip(NEXT) | instid1(VALU_DEP_2)
	v_add_f64 v[14:15], v[36:37], v[14:15]
	v_mul_f64 v[32:33], v[30:31], v[12:13]
	s_delay_alu instid0(VALU_DEP_2) | instskip(NEXT) | instid1(VALU_DEP_2)
	v_mul_f64 v[12:13], v[14:15], v[12:13]
	v_fma_f64 v[14:15], v[14:15], v[28:29], v[32:33]
	scratch_load_b32 v32, off, off          ; 4-byte Folded Reload
	v_fma_f64 v[12:13], v[30:31], v[28:29], -v[12:13]
	s_waitcnt vmcnt(0)
	v_mad_u64_u32 v[28:29], null, s2, v32, 0
	s_mul_i32 s2, s63, s20
	s_delay_alu instid0(VALU_DEP_1) | instskip(SKIP_2) | instid1(SALU_CYCLE_1)
	v_mad_u64_u32 v[30:31], null, s3, v32, v[29:30]
	scratch_load_b32 v31, off, off offset:84 ; 4-byte Folded Reload
	s_mul_hi_u32 s3, s62, s20
	s_add_i32 s3, s3, s2
	s_mul_i32 s2, s62, s20
	v_mov_b32_e32 v29, v30
	scratch_load_b32 v30, off, off offset:212 ; 4-byte Folded Reload
	s_lshl_b64 s[2:3], s[2:3], 4
	s_delay_alu instid0(SALU_CYCLE_1) | instskip(SKIP_3) | instid1(SALU_CYCLE_1)
	s_add_u32 s6, s14, s2
	v_lshlrev_b64 v[28:29], 4, v[28:29]
	s_addc_u32 s7, s15, s3
	s_lshl_b64 s[2:3], s[4:5], 4
	s_add_u32 s2, s6, s2
	s_addc_u32 s3, s7, s3
	s_waitcnt vmcnt(0)
	v_mul_hi_u32 v30, 0x226b903, v30
	s_delay_alu instid0(VALU_DEP_1) | instskip(NEXT) | instid1(VALU_DEP_1)
	v_mad_u32_u24 v34, 0x121, v30, v31
	v_mad_u64_u32 v[30:31], null, s0, v34, 0
	s_delay_alu instid0(VALU_DEP_1) | instskip(NEXT) | instid1(VALU_DEP_1)
	v_mad_u64_u32 v[32:33], null, s1, v34, v[31:32]
	v_mov_b32_e32 v31, v32
	v_add_co_u32 v32, vcc_lo, s2, v28
	v_add_co_ci_u32_e32 v33, vcc_lo, s3, v29, vcc_lo
	s_delay_alu instid0(VALU_DEP_3) | instskip(NEXT) | instid1(VALU_DEP_1)
	v_lshlrev_b64 v[28:29], 4, v[30:31]
	v_add_co_u32 v28, vcc_lo, v32, v28
	s_delay_alu instid0(VALU_DEP_2) | instskip(SKIP_2) | instid1(VALU_DEP_1)
	v_add_co_ci_u32_e32 v29, vcc_lo, v33, v29, vcc_lo
	global_store_b128 v[28:29], v[8:11], off
	v_add_nc_u32_e32 v28, 17, v34
	v_mad_u64_u32 v[8:9], null, s0, v28, 0
	s_delay_alu instid0(VALU_DEP_1) | instskip(NEXT) | instid1(VALU_DEP_1)
	v_mad_u64_u32 v[10:11], null, s1, v28, v[9:10]
	v_dual_mov_b32 v9, v10 :: v_dual_add_nc_u32 v10, 51, v34
	s_delay_alu instid0(VALU_DEP_1) | instskip(NEXT) | instid1(VALU_DEP_1)
	v_lshlrev_b64 v[8:9], 4, v[8:9]
	v_add_co_u32 v8, vcc_lo, v32, v8
	s_delay_alu instid0(VALU_DEP_2) | instskip(SKIP_2) | instid1(VALU_DEP_1)
	v_add_co_ci_u32_e32 v9, vcc_lo, v33, v9, vcc_lo
	global_store_b128 v[8:9], v[4:7], off
	v_add_nc_u32_e32 v8, 34, v34
	v_mad_u64_u32 v[4:5], null, s0, v8, 0
	s_delay_alu instid0(VALU_DEP_1) | instskip(NEXT) | instid1(VALU_DEP_1)
	v_mad_u64_u32 v[6:7], null, s1, v8, v[5:6]
	v_mov_b32_e32 v5, v6
	v_mad_u64_u32 v[6:7], null, s0, v10, 0
	s_delay_alu instid0(VALU_DEP_2) | instskip(NEXT) | instid1(VALU_DEP_2)
	v_lshlrev_b64 v[4:5], 4, v[4:5]
	v_mad_u64_u32 v[8:9], null, s1, v10, v[7:8]
	s_delay_alu instid0(VALU_DEP_2) | instskip(NEXT) | instid1(VALU_DEP_3)
	v_add_co_u32 v4, vcc_lo, v32, v4
	v_add_co_ci_u32_e32 v5, vcc_lo, v33, v5, vcc_lo
	v_add_nc_u32_e32 v9, 0x55, v34
	s_delay_alu instid0(VALU_DEP_4) | instskip(SKIP_3) | instid1(VALU_DEP_2)
	v_dual_mov_b32 v7, v8 :: v_dual_add_nc_u32 v10, 0x66, v34
	global_store_b128 v[4:5], v[0:3], off
	v_add_nc_u32_e32 v8, 0x44, v34
	v_lshlrev_b64 v[6:7], 4, v[6:7]
	v_mad_u64_u32 v[0:1], null, s0, v8, 0
	s_delay_alu instid0(VALU_DEP_2) | instskip(NEXT) | instid1(VALU_DEP_3)
	v_add_co_u32 v2, vcc_lo, v32, v6
	v_add_co_ci_u32_e32 v3, vcc_lo, v33, v7, vcc_lo
	global_store_b128 v[2:3], v[12:15], off
	v_mad_u64_u32 v[2:3], null, s0, v9, 0
	v_add_nc_u32_e32 v13, 0x88, v34
	v_add_nc_u32_e32 v14, 0x99, v34
	;; [unrolled: 1-line block ×3, first 2 shown]
	s_delay_alu instid0(VALU_DEP_4) | instskip(SKIP_1) | instid1(VALU_DEP_2)
	v_mad_u64_u32 v[4:5], null, s1, v8, v[1:2]
	v_mad_u64_u32 v[5:6], null, s0, v10, 0
	v_mov_b32_e32 v1, v4
	v_mad_u64_u32 v[7:8], null, s1, v9, v[3:4]
	s_delay_alu instid0(VALU_DEP_3) | instskip(NEXT) | instid1(VALU_DEP_3)
	v_mov_b32_e32 v3, v6
	v_lshlrev_b64 v[0:1], 4, v[0:1]
	s_delay_alu instid0(VALU_DEP_2) | instskip(SKIP_1) | instid1(VALU_DEP_3)
	v_mad_u64_u32 v[8:9], null, s1, v10, v[3:4]
	v_add_nc_u32_e32 v10, 0x77, v34
	v_add_co_u32 v0, vcc_lo, v32, v0
	v_mov_b32_e32 v3, v7
	v_add_co_ci_u32_e32 v1, vcc_lo, v33, v1, vcc_lo
	v_mov_b32_e32 v6, v8
	v_mad_u64_u32 v[7:8], null, s0, v10, 0
	global_store_b128 v[0:1], v[192:195], off
	v_lshlrev_b64 v[2:3], 4, v[2:3]
	v_lshlrev_b64 v[0:1], 4, v[5:6]
	v_mad_u64_u32 v[5:6], null, s0, v13, 0
	v_mov_b32_e32 v4, v8
	s_delay_alu instid0(VALU_DEP_4) | instskip(SKIP_1) | instid1(VALU_DEP_3)
	v_add_co_u32 v2, vcc_lo, v32, v2
	v_add_co_ci_u32_e32 v3, vcc_lo, v33, v3, vcc_lo
	v_mad_u64_u32 v[8:9], null, s1, v10, v[4:5]
	v_mov_b32_e32 v4, v6
	v_mad_u64_u32 v[9:10], null, s0, v14, 0
	v_add_co_u32 v0, vcc_lo, v32, v0
	v_add_co_ci_u32_e32 v1, vcc_lo, v33, v1, vcc_lo
	s_delay_alu instid0(VALU_DEP_4)
	v_mad_u64_u32 v[11:12], null, s1, v13, v[4:5]
	global_store_b128 v[2:3], v[45:48], off
	v_mad_u64_u32 v[2:3], null, s0, v15, 0
	global_store_b128 v[0:1], v[41:44], off
	v_dual_mov_b32 v0, v10 :: v_dual_add_nc_u32 v1, 0xbb, v34
	v_mov_b32_e32 v6, v11
	v_lshlrev_b64 v[7:8], 4, v[7:8]
	s_delay_alu instid0(VALU_DEP_3) | instskip(SKIP_4) | instid1(VALU_DEP_4)
	v_mad_u64_u32 v[10:11], null, s1, v14, v[0:1]
	v_mov_b32_e32 v0, v3
	v_mad_u64_u32 v[11:12], null, s0, v1, 0
	v_lshlrev_b64 v[3:4], 4, v[5:6]
	v_add_co_u32 v7, vcc_lo, v32, v7
	v_mad_u64_u32 v[5:6], null, s1, v15, v[0:1]
	v_add_co_ci_u32_e32 v8, vcc_lo, v33, v8, vcc_lo
	v_lshlrev_b64 v[9:10], 4, v[9:10]
	v_mov_b32_e32 v0, v12
	v_add_co_u32 v12, vcc_lo, v32, v3
	v_mov_b32_e32 v3, v5
	v_add_co_ci_u32_e32 v13, vcc_lo, v33, v4, vcc_lo
	s_delay_alu instid0(VALU_DEP_4) | instskip(NEXT) | instid1(VALU_DEP_3)
	v_mad_u64_u32 v[4:5], null, s1, v1, v[0:1]
	v_lshlrev_b64 v[0:1], 4, v[2:3]
	v_add_co_u32 v2, vcc_lo, v32, v9
	v_add_co_ci_u32_e32 v3, vcc_lo, v33, v10, vcc_lo
	s_clause 0x1
	global_store_b128 v[7:8], v[24:27], off
	global_store_b128 v[12:13], v[16:19], off
	v_add_nc_u32_e32 v10, 0xcc, v34
	v_add_nc_u32_e32 v14, 0xee, v34
	global_store_b128 v[2:3], v[20:23], off
	scratch_load_b128 v[17:20], off, off offset:92 ; 16-byte Folded Reload
	v_mov_b32_e32 v12, v4
	v_add_co_u32 v0, vcc_lo, v32, v0
	v_add_co_ci_u32_e32 v1, vcc_lo, v33, v1, vcc_lo
	v_mad_u64_u32 v[4:5], null, s0, v10, 0
	v_add_nc_u32_e32 v13, 0xdd, v34
	v_mad_u64_u32 v[6:7], null, s0, v14, 0
	v_lshlrev_b64 v[2:3], 4, v[11:12]
	global_store_b128 v[0:1], v[97:100], off
	v_mad_u64_u32 v[0:1], null, s0, v13, 0
	v_add_nc_u32_e32 v15, 0xff, v34
	v_add_nc_u32_e32 v16, 0x110, v34
	v_add_co_u32 v2, vcc_lo, v32, v2
	v_mad_u64_u32 v[8:9], null, s1, v10, v[5:6]
	v_add_co_ci_u32_e32 v3, vcc_lo, v33, v3, vcc_lo
	s_delay_alu instid0(VALU_DEP_3) | instskip(SKIP_3) | instid1(VALU_DEP_3)
	v_mad_u64_u32 v[9:10], null, s1, v13, v[1:2]
	v_mov_b32_e32 v1, v7
	v_mad_u64_u32 v[10:11], null, s0, v15, 0
	v_mov_b32_e32 v5, v8
	v_mad_u64_u32 v[12:13], null, s1, v14, v[1:2]
	v_mad_u64_u32 v[13:14], null, s0, v16, 0
	v_mov_b32_e32 v1, v9
	s_delay_alu instid0(VALU_DEP_3) | instskip(NEXT) | instid1(VALU_DEP_2)
	v_mov_b32_e32 v7, v12
	v_lshlrev_b64 v[0:1], 4, v[0:1]
	s_waitcnt vmcnt(0)
	global_store_b128 v[2:3], v[17:20], off
	v_lshlrev_b64 v[3:4], 4, v[4:5]
	v_mov_b32_e32 v2, v11
	v_lshlrev_b64 v[5:6], 4, v[6:7]
	s_delay_alu instid0(VALU_DEP_2) | instskip(SKIP_4) | instid1(VALU_DEP_3)
	v_mad_u64_u32 v[8:9], null, s1, v15, v[2:3]
	v_mov_b32_e32 v2, v14
	v_add_co_u32 v3, vcc_lo, v32, v3
	v_add_co_ci_u32_e32 v4, vcc_lo, v33, v4, vcc_lo
	v_add_co_u32 v0, vcc_lo, v32, v0
	v_mad_u64_u32 v[14:15], null, s1, v16, v[2:3]
	v_mov_b32_e32 v11, v8
	v_add_co_ci_u32_e32 v1, vcc_lo, v33, v1, vcc_lo
	v_add_co_u32 v5, vcc_lo, v32, v5
	s_delay_alu instid0(VALU_DEP_3)
	v_lshlrev_b64 v[7:8], 4, v[10:11]
	v_lshlrev_b64 v[9:10], 4, v[13:14]
	scratch_load_b128 v[11:14], off, off offset:68 ; 16-byte Folded Reload
	v_add_co_ci_u32_e32 v6, vcc_lo, v33, v6, vcc_lo
	v_add_co_u32 v7, vcc_lo, v32, v7
	v_add_co_ci_u32_e32 v8, vcc_lo, v33, v8, vcc_lo
	v_add_co_u32 v9, vcc_lo, v32, v9
	v_add_co_ci_u32_e32 v10, vcc_lo, v33, v10, vcc_lo
	s_waitcnt vmcnt(0)
	global_store_b128 v[3:4], v[11:14], off
	scratch_load_b128 v[11:14], off, off offset:52 ; 16-byte Folded Reload
	s_waitcnt vmcnt(0)
	global_store_b128 v[0:1], v[11:14], off
	scratch_load_b128 v[0:3], off, off offset:36 ; 16-byte Folded Reload
	;; [unrolled: 3-line block ×4, first 2 shown]
	s_waitcnt vmcnt(0)
	global_store_b128 v[9:10], v[0:3], off
.LBB0_19:
	s_endpgm
	.section	.rodata,"a",@progbits
	.p2align	6, 0x0
	.amdhsa_kernel fft_rtc_fwd_len289_factors_17_17_wgs_119_tpt_17_dp_op_CI_CI_sbcc_twdbase6_3step_dirReg
		.amdhsa_group_segment_fixed_size 0
		.amdhsa_private_segment_fixed_size 740
		.amdhsa_kernarg_size 112
		.amdhsa_user_sgpr_count 15
		.amdhsa_user_sgpr_dispatch_ptr 0
		.amdhsa_user_sgpr_queue_ptr 0
		.amdhsa_user_sgpr_kernarg_segment_ptr 1
		.amdhsa_user_sgpr_dispatch_id 0
		.amdhsa_user_sgpr_private_segment_size 0
		.amdhsa_wavefront_size32 1
		.amdhsa_uses_dynamic_stack 0
		.amdhsa_enable_private_segment 1
		.amdhsa_system_sgpr_workgroup_id_x 1
		.amdhsa_system_sgpr_workgroup_id_y 0
		.amdhsa_system_sgpr_workgroup_id_z 0
		.amdhsa_system_sgpr_workgroup_info 0
		.amdhsa_system_vgpr_workitem_id 0
		.amdhsa_next_free_vgpr 256
		.amdhsa_next_free_sgpr 64
		.amdhsa_reserve_vcc 1
		.amdhsa_float_round_mode_32 0
		.amdhsa_float_round_mode_16_64 0
		.amdhsa_float_denorm_mode_32 3
		.amdhsa_float_denorm_mode_16_64 3
		.amdhsa_dx10_clamp 1
		.amdhsa_ieee_mode 1
		.amdhsa_fp16_overflow 0
		.amdhsa_workgroup_processor_mode 1
		.amdhsa_memory_ordered 1
		.amdhsa_forward_progress 0
		.amdhsa_shared_vgpr_count 0
		.amdhsa_exception_fp_ieee_invalid_op 0
		.amdhsa_exception_fp_denorm_src 0
		.amdhsa_exception_fp_ieee_div_zero 0
		.amdhsa_exception_fp_ieee_overflow 0
		.amdhsa_exception_fp_ieee_underflow 0
		.amdhsa_exception_fp_ieee_inexact 0
		.amdhsa_exception_int_div_zero 0
	.end_amdhsa_kernel
	.text
.Lfunc_end0:
	.size	fft_rtc_fwd_len289_factors_17_17_wgs_119_tpt_17_dp_op_CI_CI_sbcc_twdbase6_3step_dirReg, .Lfunc_end0-fft_rtc_fwd_len289_factors_17_17_wgs_119_tpt_17_dp_op_CI_CI_sbcc_twdbase6_3step_dirReg
                                        ; -- End function
	.section	.AMDGPU.csdata,"",@progbits
; Kernel info:
; codeLenInByte = 23796
; NumSgprs: 66
; NumVgprs: 256
; ScratchSize: 740
; MemoryBound: 1
; FloatMode: 240
; IeeeMode: 1
; LDSByteSize: 0 bytes/workgroup (compile time only)
; SGPRBlocks: 8
; VGPRBlocks: 31
; NumSGPRsForWavesPerEU: 66
; NumVGPRsForWavesPerEU: 256
; Occupancy: 5
; WaveLimiterHint : 1
; COMPUTE_PGM_RSRC2:SCRATCH_EN: 1
; COMPUTE_PGM_RSRC2:USER_SGPR: 15
; COMPUTE_PGM_RSRC2:TRAP_HANDLER: 0
; COMPUTE_PGM_RSRC2:TGID_X_EN: 1
; COMPUTE_PGM_RSRC2:TGID_Y_EN: 0
; COMPUTE_PGM_RSRC2:TGID_Z_EN: 0
; COMPUTE_PGM_RSRC2:TIDIG_COMP_CNT: 0
	.text
	.p2alignl 7, 3214868480
	.fill 96, 4, 3214868480
	.type	__hip_cuid_3a08d60b2b5ea197,@object ; @__hip_cuid_3a08d60b2b5ea197
	.section	.bss,"aw",@nobits
	.globl	__hip_cuid_3a08d60b2b5ea197
__hip_cuid_3a08d60b2b5ea197:
	.byte	0                               ; 0x0
	.size	__hip_cuid_3a08d60b2b5ea197, 1

	.ident	"AMD clang version 19.0.0git (https://github.com/RadeonOpenCompute/llvm-project roc-6.4.0 25133 c7fe45cf4b819c5991fe208aaa96edf142730f1d)"
	.section	".note.GNU-stack","",@progbits
	.addrsig
	.addrsig_sym __hip_cuid_3a08d60b2b5ea197
	.amdgpu_metadata
---
amdhsa.kernels:
  - .args:
      - .actual_access:  read_only
        .address_space:  global
        .offset:         0
        .size:           8
        .value_kind:     global_buffer
      - .address_space:  global
        .offset:         8
        .size:           8
        .value_kind:     global_buffer
      - .offset:         16
        .size:           8
        .value_kind:     by_value
      - .actual_access:  read_only
        .address_space:  global
        .offset:         24
        .size:           8
        .value_kind:     global_buffer
      - .actual_access:  read_only
        .address_space:  global
        .offset:         32
        .size:           8
        .value_kind:     global_buffer
      - .actual_access:  read_only
        .address_space:  global
        .offset:         40
        .size:           8
        .value_kind:     global_buffer
      - .offset:         48
        .size:           8
        .value_kind:     by_value
      - .actual_access:  read_only
        .address_space:  global
        .offset:         56
        .size:           8
        .value_kind:     global_buffer
      - .actual_access:  read_only
        .address_space:  global
        .offset:         64
        .size:           8
        .value_kind:     global_buffer
      - .offset:         72
        .size:           4
        .value_kind:     by_value
      - .actual_access:  read_only
        .address_space:  global
        .offset:         80
        .size:           8
        .value_kind:     global_buffer
      - .actual_access:  read_only
        .address_space:  global
        .offset:         88
        .size:           8
        .value_kind:     global_buffer
      - .actual_access:  read_only
        .address_space:  global
        .offset:         96
        .size:           8
        .value_kind:     global_buffer
      - .actual_access:  write_only
        .address_space:  global
        .offset:         104
        .size:           8
        .value_kind:     global_buffer
    .group_segment_fixed_size: 0
    .kernarg_segment_align: 8
    .kernarg_segment_size: 112
    .language:       OpenCL C
    .language_version:
      - 2
      - 0
    .max_flat_workgroup_size: 119
    .name:           fft_rtc_fwd_len289_factors_17_17_wgs_119_tpt_17_dp_op_CI_CI_sbcc_twdbase6_3step_dirReg
    .private_segment_fixed_size: 740
    .sgpr_count:     66
    .sgpr_spill_count: 0
    .symbol:         fft_rtc_fwd_len289_factors_17_17_wgs_119_tpt_17_dp_op_CI_CI_sbcc_twdbase6_3step_dirReg.kd
    .uniform_work_group_size: 1
    .uses_dynamic_stack: false
    .vgpr_count:     256
    .vgpr_spill_count: 225
    .wavefront_size: 32
    .workgroup_processor_mode: 1
amdhsa.target:   amdgcn-amd-amdhsa--gfx1100
amdhsa.version:
  - 1
  - 2
...

	.end_amdgpu_metadata
